;; amdgpu-corpus repo=ROCm/rocFFT kind=compiled arch=gfx906 opt=O3
	.text
	.amdgcn_target "amdgcn-amd-amdhsa--gfx906"
	.amdhsa_code_object_version 6
	.protected	fft_rtc_back_len2430_factors_10_3_3_3_3_3_wgs_81_tpt_81_halfLds_half_ip_CI_unitstride_sbrr_dirReg ; -- Begin function fft_rtc_back_len2430_factors_10_3_3_3_3_3_wgs_81_tpt_81_halfLds_half_ip_CI_unitstride_sbrr_dirReg
	.globl	fft_rtc_back_len2430_factors_10_3_3_3_3_3_wgs_81_tpt_81_halfLds_half_ip_CI_unitstride_sbrr_dirReg
	.p2align	8
	.type	fft_rtc_back_len2430_factors_10_3_3_3_3_3_wgs_81_tpt_81_halfLds_half_ip_CI_unitstride_sbrr_dirReg,@function
fft_rtc_back_len2430_factors_10_3_3_3_3_3_wgs_81_tpt_81_halfLds_half_ip_CI_unitstride_sbrr_dirReg: ; @fft_rtc_back_len2430_factors_10_3_3_3_3_3_wgs_81_tpt_81_halfLds_half_ip_CI_unitstride_sbrr_dirReg
; %bb.0:
	s_load_dwordx2 s[2:3], s[4:5], 0x50
	s_load_dwordx4 s[8:11], s[4:5], 0x0
	s_load_dwordx2 s[12:13], s[4:5], 0x18
	v_mul_u32_u24_e32 v1, 0x32a, v0
	v_add_u32_sdwa v5, s6, v1 dst_sel:DWORD dst_unused:UNUSED_PAD src0_sel:DWORD src1_sel:WORD_1
	v_mov_b32_e32 v3, 0
	s_waitcnt lgkmcnt(0)
	v_cmp_lt_u64_e64 s[0:1], s[10:11], 2
	v_mov_b32_e32 v1, 0
	v_mov_b32_e32 v6, v3
	s_and_b64 vcc, exec, s[0:1]
	v_mov_b32_e32 v2, 0
	s_cbranch_vccnz .LBB0_8
; %bb.1:
	s_load_dwordx2 s[0:1], s[4:5], 0x10
	s_add_u32 s6, s12, 8
	s_addc_u32 s7, s13, 0
	v_mov_b32_e32 v1, 0
	v_mov_b32_e32 v2, 0
	s_waitcnt lgkmcnt(0)
	s_add_u32 s14, s0, 8
	s_addc_u32 s15, s1, 0
	s_mov_b64 s[16:17], 1
.LBB0_2:                                ; =>This Inner Loop Header: Depth=1
	s_load_dwordx2 s[18:19], s[14:15], 0x0
                                        ; implicit-def: $vgpr7_vgpr8
	s_waitcnt lgkmcnt(0)
	v_or_b32_e32 v4, s19, v6
	v_cmp_ne_u64_e32 vcc, 0, v[3:4]
	s_and_saveexec_b64 s[0:1], vcc
	s_xor_b64 s[20:21], exec, s[0:1]
	s_cbranch_execz .LBB0_4
; %bb.3:                                ;   in Loop: Header=BB0_2 Depth=1
	v_cvt_f32_u32_e32 v4, s18
	v_cvt_f32_u32_e32 v7, s19
	s_sub_u32 s0, 0, s18
	s_subb_u32 s1, 0, s19
	v_mac_f32_e32 v4, 0x4f800000, v7
	v_rcp_f32_e32 v4, v4
	v_mul_f32_e32 v4, 0x5f7ffffc, v4
	v_mul_f32_e32 v7, 0x2f800000, v4
	v_trunc_f32_e32 v7, v7
	v_mac_f32_e32 v4, 0xcf800000, v7
	v_cvt_u32_f32_e32 v7, v7
	v_cvt_u32_f32_e32 v4, v4
	v_mul_lo_u32 v8, s0, v7
	v_mul_hi_u32 v9, s0, v4
	v_mul_lo_u32 v11, s1, v4
	v_mul_lo_u32 v10, s0, v4
	v_add_u32_e32 v8, v9, v8
	v_add_u32_e32 v8, v8, v11
	v_mul_hi_u32 v9, v4, v10
	v_mul_lo_u32 v11, v4, v8
	v_mul_hi_u32 v13, v4, v8
	v_mul_hi_u32 v12, v7, v10
	v_mul_lo_u32 v10, v7, v10
	v_mul_hi_u32 v14, v7, v8
	v_add_co_u32_e32 v9, vcc, v9, v11
	v_addc_co_u32_e32 v11, vcc, 0, v13, vcc
	v_mul_lo_u32 v8, v7, v8
	v_add_co_u32_e32 v9, vcc, v9, v10
	v_addc_co_u32_e32 v9, vcc, v11, v12, vcc
	v_addc_co_u32_e32 v10, vcc, 0, v14, vcc
	v_add_co_u32_e32 v8, vcc, v9, v8
	v_addc_co_u32_e32 v9, vcc, 0, v10, vcc
	v_add_co_u32_e32 v4, vcc, v4, v8
	v_addc_co_u32_e32 v7, vcc, v7, v9, vcc
	v_mul_lo_u32 v8, s0, v7
	v_mul_hi_u32 v9, s0, v4
	v_mul_lo_u32 v10, s1, v4
	v_mul_lo_u32 v11, s0, v4
	v_add_u32_e32 v8, v9, v8
	v_add_u32_e32 v8, v8, v10
	v_mul_lo_u32 v12, v4, v8
	v_mul_hi_u32 v13, v4, v11
	v_mul_hi_u32 v14, v4, v8
	;; [unrolled: 1-line block ×3, first 2 shown]
	v_mul_lo_u32 v11, v7, v11
	v_mul_hi_u32 v9, v7, v8
	v_add_co_u32_e32 v12, vcc, v13, v12
	v_addc_co_u32_e32 v13, vcc, 0, v14, vcc
	v_mul_lo_u32 v8, v7, v8
	v_add_co_u32_e32 v11, vcc, v12, v11
	v_addc_co_u32_e32 v10, vcc, v13, v10, vcc
	v_addc_co_u32_e32 v9, vcc, 0, v9, vcc
	v_add_co_u32_e32 v8, vcc, v10, v8
	v_addc_co_u32_e32 v9, vcc, 0, v9, vcc
	v_add_co_u32_e32 v4, vcc, v4, v8
	v_addc_co_u32_e32 v9, vcc, v7, v9, vcc
	v_mad_u64_u32 v[7:8], s[0:1], v5, v9, 0
	v_mul_hi_u32 v10, v5, v4
	v_add_co_u32_e32 v11, vcc, v10, v7
	v_addc_co_u32_e32 v12, vcc, 0, v8, vcc
	v_mad_u64_u32 v[7:8], s[0:1], v6, v4, 0
	v_mad_u64_u32 v[9:10], s[0:1], v6, v9, 0
	v_add_co_u32_e32 v4, vcc, v11, v7
	v_addc_co_u32_e32 v4, vcc, v12, v8, vcc
	v_addc_co_u32_e32 v7, vcc, 0, v10, vcc
	v_add_co_u32_e32 v4, vcc, v4, v9
	v_addc_co_u32_e32 v9, vcc, 0, v7, vcc
	v_mul_lo_u32 v10, s19, v4
	v_mul_lo_u32 v11, s18, v9
	v_mad_u64_u32 v[7:8], s[0:1], s18, v4, 0
	v_add3_u32 v8, v8, v11, v10
	v_sub_u32_e32 v10, v6, v8
	v_mov_b32_e32 v11, s19
	v_sub_co_u32_e32 v7, vcc, v5, v7
	v_subb_co_u32_e64 v10, s[0:1], v10, v11, vcc
	v_subrev_co_u32_e64 v11, s[0:1], s18, v7
	v_subbrev_co_u32_e64 v10, s[0:1], 0, v10, s[0:1]
	v_cmp_le_u32_e64 s[0:1], s19, v10
	v_cndmask_b32_e64 v12, 0, -1, s[0:1]
	v_cmp_le_u32_e64 s[0:1], s18, v11
	v_cndmask_b32_e64 v11, 0, -1, s[0:1]
	v_cmp_eq_u32_e64 s[0:1], s19, v10
	v_cndmask_b32_e64 v10, v12, v11, s[0:1]
	v_add_co_u32_e64 v11, s[0:1], 2, v4
	v_addc_co_u32_e64 v12, s[0:1], 0, v9, s[0:1]
	v_add_co_u32_e64 v13, s[0:1], 1, v4
	v_addc_co_u32_e64 v14, s[0:1], 0, v9, s[0:1]
	v_subb_co_u32_e32 v8, vcc, v6, v8, vcc
	v_cmp_ne_u32_e64 s[0:1], 0, v10
	v_cmp_le_u32_e32 vcc, s19, v8
	v_cndmask_b32_e64 v10, v14, v12, s[0:1]
	v_cndmask_b32_e64 v12, 0, -1, vcc
	v_cmp_le_u32_e32 vcc, s18, v7
	v_cndmask_b32_e64 v7, 0, -1, vcc
	v_cmp_eq_u32_e32 vcc, s19, v8
	v_cndmask_b32_e32 v7, v12, v7, vcc
	v_cmp_ne_u32_e32 vcc, 0, v7
	v_cndmask_b32_e64 v7, v13, v11, s[0:1]
	v_cndmask_b32_e32 v8, v9, v10, vcc
	v_cndmask_b32_e32 v7, v4, v7, vcc
.LBB0_4:                                ;   in Loop: Header=BB0_2 Depth=1
	s_andn2_saveexec_b64 s[0:1], s[20:21]
	s_cbranch_execz .LBB0_6
; %bb.5:                                ;   in Loop: Header=BB0_2 Depth=1
	v_cvt_f32_u32_e32 v4, s18
	s_sub_i32 s20, 0, s18
	v_rcp_iflag_f32_e32 v4, v4
	v_mul_f32_e32 v4, 0x4f7ffffe, v4
	v_cvt_u32_f32_e32 v4, v4
	v_mul_lo_u32 v7, s20, v4
	v_mul_hi_u32 v7, v4, v7
	v_add_u32_e32 v4, v4, v7
	v_mul_hi_u32 v4, v5, v4
	v_mul_lo_u32 v7, v4, s18
	v_add_u32_e32 v8, 1, v4
	v_sub_u32_e32 v7, v5, v7
	v_subrev_u32_e32 v9, s18, v7
	v_cmp_le_u32_e32 vcc, s18, v7
	v_cndmask_b32_e32 v7, v7, v9, vcc
	v_cndmask_b32_e32 v4, v4, v8, vcc
	v_add_u32_e32 v8, 1, v4
	v_cmp_le_u32_e32 vcc, s18, v7
	v_cndmask_b32_e32 v7, v4, v8, vcc
	v_mov_b32_e32 v8, v3
.LBB0_6:                                ;   in Loop: Header=BB0_2 Depth=1
	s_or_b64 exec, exec, s[0:1]
	v_mul_lo_u32 v4, v8, s18
	v_mul_lo_u32 v11, v7, s19
	v_mad_u64_u32 v[9:10], s[0:1], v7, s18, 0
	s_load_dwordx2 s[0:1], s[6:7], 0x0
	s_add_u32 s16, s16, 1
	v_add3_u32 v4, v10, v11, v4
	v_sub_co_u32_e32 v5, vcc, v5, v9
	v_subb_co_u32_e32 v4, vcc, v6, v4, vcc
	s_waitcnt lgkmcnt(0)
	v_mul_lo_u32 v4, s0, v4
	v_mul_lo_u32 v6, s1, v5
	v_mad_u64_u32 v[1:2], s[0:1], s0, v5, v[1:2]
	s_addc_u32 s17, s17, 0
	s_add_u32 s6, s6, 8
	v_add3_u32 v2, v6, v2, v4
	v_mov_b32_e32 v4, s10
	v_mov_b32_e32 v5, s11
	s_addc_u32 s7, s7, 0
	v_cmp_ge_u64_e32 vcc, s[16:17], v[4:5]
	s_add_u32 s14, s14, 8
	s_addc_u32 s15, s15, 0
	s_cbranch_vccnz .LBB0_9
; %bb.7:                                ;   in Loop: Header=BB0_2 Depth=1
	v_mov_b32_e32 v5, v7
	v_mov_b32_e32 v6, v8
	s_branch .LBB0_2
.LBB0_8:
	v_mov_b32_e32 v8, v6
	v_mov_b32_e32 v7, v5
.LBB0_9:
	s_lshl_b64 s[0:1], s[10:11], 3
	s_add_u32 s0, s12, s0
	s_addc_u32 s1, s13, s1
	s_load_dwordx2 s[6:7], s[0:1], 0x0
	s_load_dwordx2 s[10:11], s[4:5], 0x20
                                        ; implicit-def: $vgpr9
                                        ; implicit-def: $vgpr50
                                        ; implicit-def: $vgpr14
                                        ; implicit-def: $vgpr10
                                        ; implicit-def: $vgpr11
                                        ; implicit-def: $vgpr48
                                        ; implicit-def: $vgpr15
                                        ; implicit-def: $vgpr6
                                        ; implicit-def: $vgpr12
                                        ; implicit-def: $vgpr49
                                        ; implicit-def: $vgpr17
                                        ; implicit-def: $vgpr13
                                        ; implicit-def: $vgpr47
                                        ; implicit-def: $vgpr18
                                        ; implicit-def: $vgpr41
                                        ; implicit-def: $vgpr16
                                        ; implicit-def: $vgpr35
                                        ; implicit-def: $vgpr22
                                        ; implicit-def: $vgpr54
                                        ; implicit-def: $vgpr27
                                        ; implicit-def: $vgpr19
                                        ; implicit-def: $vgpr24
                                        ; implicit-def: $vgpr55
                                        ; implicit-def: $vgpr28
                                        ; implicit-def: $vgpr20
                                        ; implicit-def: $vgpr26
                                        ; implicit-def: $vgpr56
                                        ; implicit-def: $vgpr31
                                        ; implicit-def: $vgpr21
                                        ; implicit-def: $vgpr23
                                        ; implicit-def: $vgpr52
                                        ; implicit-def: $vgpr29
                                        ; implicit-def: $vgpr25
                                        ; implicit-def: $vgpr53
                                        ; implicit-def: $vgpr30
                                        ; implicit-def: $vgpr51
                                        ; implicit-def: $vgpr36
                                        ; implicit-def: $vgpr65
                                        ; implicit-def: $vgpr42
                                        ; implicit-def: $vgpr34
                                        ; implicit-def: $vgpr37
                                        ; implicit-def: $vgpr64
                                        ; implicit-def: $vgpr44
                                        ; implicit-def: $vgpr33
                                        ; implicit-def: $vgpr40
                                        ; implicit-def: $vgpr63
                                        ; implicit-def: $vgpr43
                                        ; implicit-def: $vgpr32
                                        ; implicit-def: $vgpr38
                                        ; implicit-def: $vgpr61
                                        ; implicit-def: $vgpr45
                                        ; implicit-def: $vgpr39
                                        ; implicit-def: $vgpr62
                                        ; implicit-def: $vgpr46
                                        ; implicit-def: $vgpr57
	s_waitcnt lgkmcnt(0)
	v_mad_u64_u32 v[1:2], s[0:1], s6, v7, v[1:2]
	v_mul_lo_u32 v3, s6, v8
	v_mul_lo_u32 v4, s7, v7
	s_mov_b32 s0, 0x3291620
	v_mul_hi_u32 v5, v0, s0
	v_cmp_gt_u64_e32 vcc, s[10:11], v[7:8]
	v_add3_u32 v2, v4, v2, v3
	v_lshlrev_b64 v[2:3], 2, v[1:2]
	v_mul_u32_u24_e32 v4, 0x51, v5
	v_sub_u32_e32 v0, v0, v4
                                        ; implicit-def: $vgpr4
                                        ; implicit-def: $vgpr5
                                        ; implicit-def: $vgpr7
                                        ; implicit-def: $vgpr8
                                        ; implicit-def: $vgpr1
	s_and_saveexec_b64 s[4:5], vcc
	s_cbranch_execz .LBB0_11
; %bb.10:
	v_mov_b32_e32 v1, 0
	v_mov_b32_e32 v4, s3
	v_add_co_u32_e64 v6, s[0:1], s2, v2
	v_addc_co_u32_e64 v7, s[0:1], v4, v3, s[0:1]
	v_lshlrev_b64 v[4:5], 2, v[0:1]
	v_add_co_u32_e64 v11, s[0:1], v6, v4
	v_addc_co_u32_e64 v12, s[0:1], v7, v5, s[0:1]
	s_movk_i32 s0, 0x1000
	v_add_co_u32_e64 v13, s[0:1], s0, v11
	v_addc_co_u32_e64 v14, s[0:1], 0, v12, s[0:1]
	s_movk_i32 s0, 0x2000
	v_add_co_u32_e64 v15, s[0:1], s0, v11
	v_addc_co_u32_e64 v16, s[0:1], 0, v12, s[0:1]
	global_load_dword v62, v[11:12], off offset:972
	global_load_dword v1, v[11:12], off offset:1944
	;; [unrolled: 1-line block ×7, first 2 shown]
	global_load_dword v57, v[11:12], off
	global_load_dword v34, v[13:14], off offset:3680
	global_load_dword v51, v[11:12], off offset:324
	;; [unrolled: 1-line block ×22, first 2 shown]
	s_waitcnt vmcnt(14)
	v_lshrrev_b32_e32 v36, 16, v65
	s_waitcnt vmcnt(13)
	v_lshrrev_b32_e32 v31, 16, v21
	;; [unrolled: 2-line block ×8, first 2 shown]
	v_lshrrev_b32_e32 v39, 16, v62
	v_lshrrev_b32_e32 v45, 16, v1
	v_lshrrev_b32_e32 v38, 16, v61
	v_lshrrev_b32_e32 v46, 16, v57
	v_lshrrev_b32_e32 v43, 16, v32
	v_lshrrev_b32_e32 v30, 16, v51
	v_lshrrev_b32_e32 v25, 16, v53
	v_lshrrev_b32_e32 v29, 16, v8
	v_lshrrev_b32_e32 v23, 16, v52
	v_lshrrev_b32_e32 v16, 16, v35
	v_lshrrev_b32_e32 v7, 16, v41
	v_lshrrev_b32_e32 v40, 16, v63
	v_lshrrev_b32_e32 v44, 16, v33
	v_lshrrev_b32_e32 v37, 16, v64
	v_lshrrev_b32_e32 v42, 16, v34
	s_waitcnt vmcnt(5)
	v_lshrrev_b32_e32 v18, 16, v5
	v_lshrrev_b32_e32 v13, 16, v47
	s_waitcnt vmcnt(2)
	v_lshrrev_b32_e32 v12, 16, v49
	v_lshrrev_b32_e32 v15, 16, v6
	;; [unrolled: 1-line block ×3, first 2 shown]
	s_waitcnt vmcnt(0)
	v_lshrrev_b32_e32 v14, 16, v10
	v_lshrrev_b32_e32 v9, 16, v50
.LBB0_11:
	s_or_b64 exec, exec, s[4:5]
	v_sub_f16_e32 v58, v1, v32
	v_sub_f16_e32 v59, v34, v33
	v_add_f16_e32 v66, v59, v58
	v_sub_f16_e32 v58, v32, v1
	v_sub_f16_e32 v59, v33, v34
	v_add_f16_e32 v58, v59, v58
	v_add_f16_e32 v59, v34, v1
	s_mov_b32 s6, 0xbb9c
	s_movk_i32 s1, 0x3b9c
	v_fma_f16 v59, v59, -0.5, v57
	v_sub_f16_e32 v68, v43, v44
	s_mov_b32 s5, 0xb8b4
	s_movk_i32 s0, 0x38b4
	v_sub_f16_e32 v67, v45, v42
	v_fma_f16 v60, v68, s1, v59
	v_fma_f16 v59, v68, s6, v59
	s_movk_i32 s4, 0x34f2
	v_fma_f16 v60, v67, s5, v60
	v_fma_f16 v59, v67, s0, v59
	v_fma_f16 v69, v58, s4, v60
	v_fma_f16 v58, v58, s4, v59
	v_sub_f16_e32 v59, v61, v63
	v_sub_f16_e32 v60, v65, v64
	v_add_f16_e32 v70, v60, v59
	v_sub_f16_e32 v59, v63, v61
	v_sub_f16_e32 v60, v64, v65
	v_add_f16_e32 v60, v60, v59
	v_add_f16_e32 v59, v65, v61
	v_fma_f16 v71, v59, -0.5, v62
	v_sub_f16_e32 v73, v40, v37
	v_sub_f16_e32 v72, v38, v36
	v_fma_f16 v59, v73, s1, v71
	v_fma_f16 v71, v73, s6, v71
	;; [unrolled: 1-line block ×6, first 2 shown]
	v_add_f16_e32 v71, v64, v63
	v_fma_f16 v71, v71, -0.5, v62
	v_add_f16_e32 v62, v61, v62
	v_add_f16_e32 v62, v63, v62
	;; [unrolled: 1-line block ×4, first 2 shown]
	v_sub_f16_e32 v65, v61, v65
	v_sub_f16_e32 v61, v38, v40
	;; [unrolled: 1-line block ×3, first 2 shown]
	v_add_f16_e32 v75, v62, v61
	v_sub_f16_e32 v61, v40, v38
	v_sub_f16_e32 v62, v37, v36
	v_add_f16_e32 v62, v62, v61
	v_add_f16_e32 v61, v36, v38
	v_sub_f16_e32 v64, v63, v64
	v_fma_f16 v63, v61, -0.5, v39
	v_fma_f16 v61, v64, s6, v63
	v_fma_f16 v61, v65, s0, v61
	;; [unrolled: 1-line block ×6, first 2 shown]
	v_mul_f16_e32 v63, 0xbb9c, v61
	v_fma_f16 v76, v59, s4, v63
	s_mov_b32 s7, 0xb4f2
	v_mul_f16_e32 v63, 0xbb9c, v62
	v_fma_f16 v63, v60, s7, v63
	v_add_f16_e32 v81, v37, v40
	v_add_f16_e32 v77, v69, v76
	;; [unrolled: 1-line block ×3, first 2 shown]
	v_fma_f16 v81, v81, -0.5, v39
	v_pack_b32_f16 v77, v77, v78
	v_add_f16_e32 v78, v33, v32
	v_fma_f16 v82, v65, s1, v81
	v_fma_f16 v78, v78, -0.5, v57
	v_fma_f16 v80, v72, s6, v71
	v_fma_f16 v82, v64, s0, v82
	;; [unrolled: 1-line block ×6, first 2 shown]
	v_add_f16_e32 v57, v1, v57
	v_fma_f16 v79, v68, s5, v79
	v_fma_f16 v80, v70, s4, v80
	s_movk_i32 s10, 0x3a79
	v_mul_f16_e32 v83, 0xb8b4, v82
	v_fma_f16 v67, v68, s0, v67
	v_fma_f16 v65, v65, s6, v81
	v_add_f16_e32 v57, v32, v57
	v_fma_f16 v79, v66, s4, v79
	v_fma_f16 v83, v80, s10, v83
	;; [unrolled: 1-line block ×5, first 2 shown]
	v_add_f16_e32 v57, v33, v57
	v_fma_f16 v67, v73, s0, v67
	v_fma_f16 v64, v75, s4, v64
	v_sub_f16_e32 v65, v79, v83
	v_sub_f16_e32 v68, v69, v76
	v_add_f16_e32 v57, v34, v57
	v_fma_f16 v67, v70, s4, v67
	v_pack_b32_f16 v65, v65, v68
	s_mov_b32 s11, 0xba79
	v_mul_f16_e32 v68, 0xb8b4, v64
	v_add_f16_e32 v84, v74, v57
	v_add_f16_e32 v85, v79, v83
	v_fma_f16 v68, v67, s11, v68
	v_pack_b32_f16 v84, v84, v85
	v_mul_u32_u24_e32 v85, 10, v0
	v_sub_f16_e32 v57, v57, v74
	v_add_f16_e32 v69, v66, v68
	v_lshl_add_u32 v85, v85, 1, 0
	v_pack_b32_f16 v57, v69, v57
	ds_write2_b32 v85, v57, v65 offset0:2 offset1:3
	v_sub_f16_e32 v57, v8, v21
	v_sub_f16_e32 v65, v19, v20
	v_add_f16_e32 v57, v65, v57
	v_sub_f16_e32 v65, v21, v8
	v_sub_f16_e32 v69, v20, v19
	v_add_f16_e32 v65, v69, v65
	v_add_f16_e32 v69, v19, v8
	v_fma_f16 v69, v69, -0.5, v51
	v_sub_f16_e32 v71, v31, v28
	v_sub_f16_e32 v70, v29, v27
	v_fma_f16 v72, v71, s1, v69
	v_fma_f16 v69, v71, s6, v69
	;; [unrolled: 1-line block ×6, first 2 shown]
	v_sub_f16_e32 v69, v52, v56
	v_sub_f16_e32 v73, v54, v55
	v_add_f16_e32 v69, v73, v69
	v_sub_f16_e32 v73, v56, v52
	v_sub_f16_e32 v74, v55, v54
	v_add_f16_e32 v73, v74, v73
	v_add_f16_e32 v74, v54, v52
	v_fma_f16 v74, v74, -0.5, v53
	v_sub_f16_e32 v76, v26, v24
	ds_write2_b32 v85, v84, v77 offset1:1
	v_sub_f16_e32 v75, v23, v22
	v_fma_f16 v77, v76, s1, v74
	v_fma_f16 v74, v76, s6, v74
	;; [unrolled: 1-line block ×6, first 2 shown]
	v_add_f16_e32 v74, v55, v56
	v_fma_f16 v74, v74, -0.5, v53
	v_add_f16_e32 v53, v52, v53
	v_add_f16_e32 v53, v56, v53
	;; [unrolled: 1-line block ×4, first 2 shown]
	v_sub_f16_e32 v52, v52, v54
	v_sub_f16_e32 v54, v56, v55
	;; [unrolled: 1-line block ×4, first 2 shown]
	v_add_f16_e32 v55, v56, v55
	v_sub_f16_e32 v56, v26, v23
	v_sub_f16_e32 v78, v24, v22
	v_add_f16_e32 v56, v78, v56
	v_add_f16_e32 v78, v22, v23
	v_fma_f16 v78, v78, -0.5, v25
	v_fma_f16 v79, v54, s6, v78
	v_fma_f16 v78, v54, s1, v78
	;; [unrolled: 1-line block ×6, first 2 shown]
	v_mul_f16_e32 v56, 0xbb9c, v79
	v_mul_f16_e32 v81, 0xbb9c, v78
	v_fma_f16 v56, v77, s4, v56
	v_fma_f16 v81, v73, s7, v81
	v_add_f16_e32 v83, v72, v56
	v_add_f16_e32 v84, v65, v81
	v_add_f16_e32 v88, v24, v26
	v_pack_b32_f16 v83, v83, v84
	v_add_f16_e32 v84, v20, v21
	v_fma_f16 v88, v88, -0.5, v25
	v_fma_f16 v84, v84, -0.5, v51
	v_fma_f16 v89, v52, s1, v88
	v_add_f16_e32 v51, v8, v51
	v_fma_f16 v86, v70, s6, v84
	v_fma_f16 v87, v75, s6, v74
	;; [unrolled: 1-line block ×4, first 2 shown]
	v_add_f16_e32 v51, v21, v51
	v_fma_f16 v86, v71, s5, v86
	v_fma_f16 v87, v76, s5, v87
	;; [unrolled: 1-line block ×4, first 2 shown]
	v_add_f16_e32 v51, v20, v51
	v_fma_f16 v86, v57, s4, v86
	v_fma_f16 v87, v69, s4, v87
	v_mul_f16_e32 v90, 0xb8b4, v89
	v_fma_f16 v57, v57, s4, v70
	v_fma_f16 v70, v75, s1, v74
	;; [unrolled: 1-line block ×3, first 2 shown]
	v_add_f16_e32 v51, v19, v51
	v_fma_f16 v90, v87, s10, v90
	v_fma_f16 v70, v76, s0, v70
	;; [unrolled: 1-line block ×3, first 2 shown]
	v_add_f16_e32 v91, v53, v51
	v_fma_f16 v69, v69, s4, v70
	v_fma_f16 v70, v55, s4, v52
	v_sub_f16_e32 v51, v51, v53
	v_sub_f16_e32 v52, v86, v90
	;; [unrolled: 1-line block ×3, first 2 shown]
	v_pack_b32_f16 v52, v52, v53
	v_mul_f16_e32 v53, 0xb8b4, v70
	v_fma_f16 v53, v69, s11, v53
	v_add_f16_e32 v54, v57, v53
	v_pack_b32_f16 v51, v54, v51
	v_add_u32_e32 v71, 0x65c, v85
	ds_write2_b32 v71, v51, v52 offset1:1
	v_sub_f16_e32 v51, v5, v4
	v_sub_f16_e32 v52, v10, v6
	v_add_f16_e32 v51, v52, v51
	v_sub_f16_e32 v52, v4, v5
	v_sub_f16_e32 v54, v6, v10
	v_add_f16_e32 v52, v54, v52
	v_add_f16_e32 v54, v10, v5
	v_fma_f16 v54, v54, -0.5, v35
	v_sub_f16_e32 v56, v17, v15
	v_sub_f16_e32 v55, v18, v14
	v_fma_f16 v72, v56, s1, v54
	v_fma_f16 v54, v56, s6, v54
	;; [unrolled: 1-line block ×6, first 2 shown]
	v_sub_f16_e32 v54, v47, v49
	v_sub_f16_e32 v74, v50, v48
	v_add_f16_e32 v92, v86, v90
	v_add_f16_e32 v54, v74, v54
	v_sub_f16_e32 v74, v49, v47
	v_sub_f16_e32 v75, v48, v50
	v_pack_b32_f16 v91, v91, v92
	v_add_u32_e32 v92, 0x654, v85
	v_add_f16_e32 v74, v75, v74
	v_add_f16_e32 v75, v50, v47
	ds_write2_b32 v92, v91, v83 offset1:1
	v_fma_f16 v75, v75, -0.5, v41
	v_sub_f16_e32 v83, v12, v11
	v_sub_f16_e32 v76, v13, v9
	v_fma_f16 v84, v83, s1, v75
	v_fma_f16 v75, v83, s6, v75
	;; [unrolled: 1-line block ×6, first 2 shown]
	v_add_f16_e32 v75, v48, v49
	v_fma_f16 v75, v75, -0.5, v41
	v_add_f16_e32 v41, v47, v41
	v_add_f16_e32 v41, v49, v41
	;; [unrolled: 1-line block ×4, first 2 shown]
	v_sub_f16_e32 v47, v47, v50
	v_sub_f16_e32 v48, v49, v48
	;; [unrolled: 1-line block ×4, first 2 shown]
	v_add_f16_e32 v49, v50, v49
	v_sub_f16_e32 v50, v12, v13
	v_sub_f16_e32 v86, v11, v9
	v_add_f16_e32 v50, v86, v50
	v_add_f16_e32 v86, v9, v13
	v_fma_f16 v86, v86, -0.5, v7
	v_fma_f16 v88, v48, s6, v86
	v_fma_f16 v86, v48, s1, v86
	;; [unrolled: 1-line block ×6, first 2 shown]
	v_mul_f16_e32 v50, 0xbb9c, v88
	v_mul_f16_e32 v90, 0xbb9c, v86
	v_fma_f16 v50, v84, s4, v50
	v_fma_f16 v90, v74, s7, v90
	v_add_f16_e32 v96, v11, v12
	v_add_f16_e32 v91, v72, v50
	;; [unrolled: 1-line block ×3, first 2 shown]
	v_fma_f16 v96, v96, -0.5, v7
	v_pack_b32_f16 v91, v91, v93
	v_add_f16_e32 v93, v6, v4
	v_fma_f16 v97, v47, s1, v96
	v_fma_f16 v93, v93, -0.5, v35
	v_add_f16_e32 v35, v5, v35
	v_fma_f16 v95, v76, s6, v75
	v_fma_f16 v97, v48, s0, v97
	v_add_f16_e32 v35, v4, v35
	v_fma_f16 v94, v55, s6, v93
	v_fma_f16 v95, v83, s5, v95
	;; [unrolled: 1-line block ×3, first 2 shown]
	v_add_f16_e32 v35, v6, v35
	v_fma_f16 v94, v56, s5, v94
	v_fma_f16 v95, v54, s4, v95
	v_mul_f16_e32 v98, 0xb8b4, v97
	v_add_f16_e32 v35, v10, v35
	v_fma_f16 v94, v51, s4, v94
	v_fma_f16 v98, v95, s10, v98
	;; [unrolled: 1-line block ×3, first 2 shown]
	v_add_f16_e32 v99, v41, v35
	v_add_f16_e32 v100, v94, v98
	v_fma_f16 v55, v56, s0, v55
	v_pack_b32_f16 v99, v99, v100
	v_add_u32_e32 v100, 0xca8, v85
	v_fma_f16 v51, v51, s4, v55
	v_fma_f16 v55, v76, s1, v75
	ds_write2_b32 v100, v99, v91 offset1:1
	v_fma_f16 v55, v83, s0, v55
	v_sub_f16_e32 v83, v1, v34
	v_sub_f16_e32 v91, v32, v33
	;; [unrolled: 1-line block ×4, first 2 shown]
	v_add_f16_e32 v93, v32, v1
	v_add_f16_e32 v32, v45, v46
	;; [unrolled: 1-line block ×4, first 2 shown]
	v_sub_f16_e32 v35, v35, v41
	v_sub_f16_e32 v41, v94, v98
	v_fma_f16 v94, v1, -0.5, v46
	v_add_f16_e32 v1, v42, v45
	v_add_f16_e32 v32, v44, v32
	v_fma_f16 v47, v47, s6, v96
	v_fma_f16 v1, v1, -0.5, v46
	v_sub_f16_e32 v33, v43, v45
	v_add_f16_e32 v96, v42, v32
	v_sub_f16_e32 v32, v44, v42
	v_add_f16_e32 v32, v32, v33
	v_fma_f16 v33, v91, s6, v1
	v_fma_f16 v1, v91, s1, v1
	;; [unrolled: 1-line block ×4, first 2 shown]
	v_add_f16_e32 v1, v38, v39
	v_add_f16_e32 v1, v40, v1
	v_fma_f16 v47, v48, s5, v47
	v_add_f16_e32 v1, v37, v1
	v_fma_f16 v76, v49, s4, v47
	v_sub_f16_e32 v47, v72, v50
	v_add_f16_e32 v101, v36, v1
	v_mul_f16_e32 v1, 0x38b4, v80
	v_fma_f16 v75, v54, s4, v55
	v_pack_b32_f16 v41, v41, v47
	v_mul_f16_e32 v47, 0xb8b4, v76
	v_fma_f16 v80, v82, s10, v1
	v_mul_f16_e32 v1, 0x3b9c, v59
	v_fma_f16 v47, v75, s11, v47
	v_fma_f16 v33, v83, s0, v33
	;; [unrolled: 1-line block ×3, first 2 shown]
	v_mul_f16_e32 v1, 0xb4f2, v62
	v_add_f16_e32 v48, v51, v47
	v_fma_f16 v98, v32, s4, v33
	v_fma_f16 v62, v60, s1, v1
	v_sub_f16_e32 v1, v58, v63
	v_sub_f16_e32 v32, v66, v68
	v_pack_b32_f16 v35, v48, v35
	v_add_u32_e32 v72, 0xcb0, v85
	v_sub_f16_e32 v33, v65, v81
	v_sub_f16_e32 v34, v57, v53
	v_pack_b32_f16 v1, v1, v32
	ds_write2_b32 v72, v35, v41 offset1:1
	v_sub_f16_e32 v35, v52, v90
	v_sub_f16_e32 v36, v51, v47
	ds_write_b32 v85, v1 offset:16
	v_pack_b32_f16 v1, v33, v34
	ds_write_b32 v85, v1 offset:1636
	v_pack_b32_f16 v1, v35, v36
	ds_write_b32 v85, v1 offset:3256
	v_add_f16_e32 v1, v98, v82
	v_add_f16_e32 v32, v99, v62
	v_pack_b32_f16 v63, v1, v32
	v_fma_f16 v1, v83, s1, v94
	v_fma_f16 v1, v91, s0, v1
	v_fma_f16 v65, v93, s4, v1
	v_add_f16_e32 v1, v101, v96
	v_add_f16_e32 v32, v65, v80
	s_movk_i32 s7, 0xffee
	v_pack_b32_f16 v66, v1, v32
	v_mad_i32_i24 v1, v0, s7, v85
	s_waitcnt lgkmcnt(0)
	s_barrier
	ds_read_u16 v54, v1 offset:3564
	ds_read_u16 v51, v1 offset:3726
	;; [unrolled: 1-line block ×6, first 2 shown]
	ds_read_u16 v41, v1
	ds_read_u16 v40, v1 offset:162
	ds_read_u16 v39, v1 offset:324
	;; [unrolled: 1-line block ×23, first 2 shown]
	s_waitcnt lgkmcnt(0)
	s_barrier
	ds_write2_b32 v85, v66, v63 offset1:1
	v_fma_f16 v63, v83, s6, v94
	v_sub_f16_e32 v8, v8, v19
	v_sub_f16_e32 v19, v21, v20
	;; [unrolled: 1-line block ×4, first 2 shown]
	v_fma_f16 v63, v91, s5, v63
	v_mul_f16_e32 v64, 0xba79, v64
	v_add_f16_e32 v20, v21, v20
	v_add_f16_e32 v21, v28, v31
	v_fma_f16 v63, v93, s4, v63
	v_fma_f16 v64, v67, s0, v64
	v_sub_f16_e32 v65, v65, v80
	v_sub_f16_e32 v67, v98, v82
	v_fma_f16 v21, v21, -0.5, v30
	v_pack_b32_f16 v65, v65, v67
	v_add_f16_e32 v67, v63, v64
	v_sub_f16_e32 v63, v63, v64
	v_fma_f16 v64, v8, s1, v21
	v_fma_f16 v21, v8, s6, v21
	;; [unrolled: 1-line block ×6, first 2 shown]
	v_add_f16_e32 v21, v27, v29
	v_fma_f16 v21, v21, -0.5, v30
	v_add_f16_e32 v30, v29, v30
	v_add_f16_e32 v30, v31, v30
	;; [unrolled: 1-line block ×3, first 2 shown]
	v_sub_f16_e32 v29, v31, v29
	v_add_f16_e32 v30, v27, v30
	v_sub_f16_e32 v27, v28, v27
	v_fma_f16 v28, v19, s6, v21
	v_add_f16_e32 v27, v27, v29
	v_fma_f16 v19, v19, s1, v21
	v_fma_f16 v21, v8, s0, v28
	;; [unrolled: 1-line block ×4, first 2 shown]
	v_add_f16_e32 v21, v23, v25
	v_add_f16_e32 v21, v26, v21
	v_sub_f16_e32 v5, v5, v10
	v_sub_f16_e32 v4, v4, v6
	v_sub_f16_e32 v6, v18, v17
	v_sub_f16_e32 v10, v14, v15
	v_add_f16_e32 v21, v24, v21
	v_mul_f16_e32 v23, 0x3b9c, v77
	v_mul_f16_e32 v24, 0xb4f2, v78
	;; [unrolled: 1-line block ×3, first 2 shown]
	v_add_f16_e32 v6, v10, v6
	v_add_f16_e32 v10, v15, v17
	v_fma_f16 v8, v27, s4, v8
	v_fma_f16 v23, v79, s4, v23
	v_fma_f16 v24, v73, s1, v24
	v_fma_f16 v25, v69, s0, v25
	v_fma_f16 v10, v10, -0.5, v16
	v_add_f16_e32 v28, v19, v23
	v_sub_f16_e32 v19, v19, v23
	v_add_f16_e32 v23, v8, v24
	v_sub_f16_e32 v8, v8, v24
	;; [unrolled: 2-line block ×3, first 2 shown]
	v_fma_f16 v25, v5, s1, v10
	v_fma_f16 v10, v5, s6, v10
	;; [unrolled: 1-line block ×6, first 2 shown]
	v_add_f16_e32 v10, v14, v18
	v_fma_f16 v10, v10, -0.5, v16
	v_add_f16_e32 v16, v18, v16
	v_add_f16_e32 v16, v17, v16
	;; [unrolled: 1-line block ×3, first 2 shown]
	v_sub_f16_e32 v17, v17, v18
	v_add_f16_e32 v16, v14, v16
	v_sub_f16_e32 v14, v15, v14
	v_fma_f16 v15, v4, s6, v10
	v_add_f16_e32 v7, v13, v7
	v_add_f16_e32 v14, v14, v17
	v_fma_f16 v4, v4, s1, v10
	v_fma_f16 v10, v5, s0, v15
	v_add_f16_e32 v7, v12, v7
	v_fma_f16 v4, v5, s5, v4
	v_fma_f16 v5, v14, s4, v10
	v_add_f16_e32 v7, v11, v7
	v_mul_f16_e32 v10, 0x3b9c, v84
	v_mul_f16_e32 v11, 0xb4f2, v86
	;; [unrolled: 1-line block ×3, first 2 shown]
	v_fma_f16 v4, v14, s4, v4
	v_fma_f16 v10, v88, s4, v10
	;; [unrolled: 1-line block ×4, first 2 shown]
	v_add_f16_e32 v15, v5, v10
	v_sub_f16_e32 v5, v5, v10
	v_add_f16_e32 v10, v4, v11
	v_sub_f16_e32 v4, v4, v11
	;; [unrolled: 2-line block ×3, first 2 shown]
	v_add_f16_e32 v7, v9, v7
	v_mul_f16_e32 v9, 0x38b4, v95
	v_pack_b32_f16 v4, v4, v6
	s_movk_i32 s0, 0xcd
	v_add_f16_e32 v21, v22, v21
	v_mul_f16_e32 v22, 0x38b4, v87
	v_fma_f16 v9, v97, s10, v9
	ds_write_b32 v85, v4 offset:3256
	v_mul_lo_u16_sdwa v4, v0, s0 dst_sel:DWORD dst_unused:UNUSED_PAD src0_sel:BYTE_0 src1_sel:DWORD
	v_sub_f16_e32 v62, v99, v62
	v_fma_f16 v22, v89, s10, v22
	v_add_f16_e32 v13, v7, v16
	v_sub_f16_e32 v7, v16, v7
	v_add_f16_e32 v14, v25, v9
	v_sub_f16_e32 v9, v25, v9
	v_pack_b32_f16 v8, v8, v20
	v_lshrrev_b16_e32 v6, 11, v4
	v_add_f16_e32 v26, v21, v30
	v_add_f16_e32 v27, v64, v22
	v_pack_b32_f16 v12, v62, v63
	ds_write_b32 v85, v8 offset:1636
	v_pack_b32_f16 v8, v15, v10
	v_pack_b32_f16 v10, v13, v14
	;; [unrolled: 1-line block ×4, first 2 shown]
	v_mul_lo_u16_e32 v4, 10, v6
	v_sub_f16_e32 v66, v96, v101
	v_sub_f16_e32 v21, v30, v21
	v_sub_f16_e32 v22, v64, v22
	ds_write_b32 v85, v12 offset:16
	v_pack_b32_f16 v12, v28, v23
	v_pack_b32_f16 v16, v26, v27
	ds_write2_b32 v100, v10, v8 offset1:1
	ds_write2_b32 v72, v7, v5 offset1:1
	v_sub_u16_e32 v7, v0, v4
	v_mov_b32_e32 v10, 3
	v_pack_b32_f16 v66, v67, v66
	ds_write2_b32 v92, v16, v12 offset1:1
	v_pack_b32_f16 v12, v22, v19
	v_pack_b32_f16 v16, v24, v21
	v_lshlrev_b32_sdwa v4, v10, v7 dst_sel:DWORD dst_unused:UNUSED_PAD src0_sel:DWORD src1_sel:BYTE_0
	ds_write2_b32 v85, v66, v65 offset0:2 offset1:3
	ds_write2_b32 v71, v16, v12 offset1:1
	s_waitcnt lgkmcnt(0)
	s_barrier
	global_load_dwordx2 v[4:5], v4, s[8:9]
	v_add_u32_e32 v17, 0x51, v0
	v_mul_lo_u16_sdwa v8, v17, s0 dst_sel:DWORD dst_unused:UNUSED_PAD src0_sel:BYTE_0 src1_sel:DWORD
	v_lshrrev_b16_e32 v8, 11, v8
	v_mul_lo_u16_e32 v9, 10, v8
	v_sub_u16_e32 v9, v17, v9
	v_lshlrev_b32_sdwa v11, v10, v9 dst_sel:DWORD dst_unused:UNUSED_PAD src0_sel:DWORD src1_sel:BYTE_0
	global_load_dwordx2 v[62:63], v11, s[8:9]
	v_add_u32_e32 v29, 0xa2, v0
	v_mul_lo_u16_sdwa v11, v29, s0 dst_sel:DWORD dst_unused:UNUSED_PAD src0_sel:BYTE_0 src1_sel:DWORD
	v_lshrrev_b16_e32 v11, 11, v11
	v_mul_lo_u16_e32 v12, 10, v11
	v_sub_u16_e32 v12, v29, v12
	v_lshlrev_b32_sdwa v13, v10, v12 dst_sel:DWORD dst_unused:UNUSED_PAD src0_sel:DWORD src1_sel:BYTE_0
	v_add_u32_e32 v24, 0xf3, v0
	s_mov_b32 s0, 0xcccd
	global_load_dwordx2 v[64:65], v13, s[8:9]
	v_mul_u32_u24_sdwa v13, v24, s0 dst_sel:DWORD dst_unused:UNUSED_PAD src0_sel:WORD_0 src1_sel:DWORD
	v_lshrrev_b32_e32 v13, 19, v13
	v_mul_lo_u16_e32 v14, 10, v13
	v_sub_u16_e32 v14, v24, v14
	v_lshlrev_b32_e32 v15, 3, v14
	v_add_u32_e32 v25, 0x144, v0
	global_load_dwordx2 v[66:67], v15, s[8:9]
	v_mul_u32_u24_sdwa v15, v25, s0 dst_sel:DWORD dst_unused:UNUSED_PAD src0_sel:WORD_0 src1_sel:DWORD
	v_lshrrev_b32_e32 v15, 19, v15
	v_mul_lo_u16_e32 v16, 10, v15
	v_add_u32_e32 v23, 0x195, v0
	v_sub_u16_e32 v16, v25, v16
	v_mul_u32_u24_sdwa v19, v23, s0 dst_sel:DWORD dst_unused:UNUSED_PAD src0_sel:WORD_0 src1_sel:DWORD
	v_lshlrev_b32_e32 v18, 3, v16
	v_lshrrev_b32_e32 v19, 19, v19
	global_load_dwordx2 v[68:69], v18, s[8:9]
	v_mul_lo_u16_e32 v18, 10, v19
	v_sub_u16_e32 v30, v23, v18
	v_lshlrev_b32_e32 v18, 3, v30
	v_add_u32_e32 v22, 0x1e6, v0
	global_load_dwordx2 v[70:71], v18, s[8:9]
	v_mul_u32_u24_sdwa v18, v22, s0 dst_sel:DWORD dst_unused:UNUSED_PAD src0_sel:WORD_0 src1_sel:DWORD
	v_lshrrev_b32_e32 v20, 19, v18
	v_mul_lo_u16_e32 v18, 10, v20
	v_sub_u16_e32 v21, v22, v18
	v_lshlrev_b32_e32 v18, 3, v21
	v_add_u32_e32 v28, 0x237, v0
	ds_read_u16 v26, v1 offset:1620
	ds_read_u16 v31, v1 offset:1782
	;; [unrolled: 1-line block ×7, first 2 shown]
	global_load_dwordx2 v[72:73], v18, s[8:9]
	v_mul_u32_u24_sdwa v18, v28, s0 dst_sel:DWORD dst_unused:UNUSED_PAD src0_sel:WORD_0 src1_sel:DWORD
	s_mov_b32 s4, 0xbaee
	s_movk_i32 s5, 0x3aee
	v_mul_u32_u24_e32 v6, 60, v6
	s_waitcnt vmcnt(6) lgkmcnt(6)
	v_mul_f16_sdwa v27, v26, v4 dst_sel:DWORD dst_unused:UNUSED_PAD src0_sel:DWORD src1_sel:WORD_1
	v_fma_f16 v85, v61, v4, v27
	v_mul_f16_sdwa v27, v61, v4 dst_sel:DWORD dst_unused:UNUSED_PAD src0_sel:DWORD src1_sel:WORD_1
	v_lshrrev_b32_e32 v61, 19, v18
	v_mul_lo_u16_e32 v18, 10, v61
	v_sub_u16_e32 v86, v28, v18
	v_fma_f16 v4, v26, v4, -v27
	v_lshlrev_b32_e32 v18, 3, v86
	v_add_u32_e32 v27, 0x288, v0
	global_load_dwordx2 v[74:75], v18, s[8:9]
	v_mul_u32_u24_sdwa v18, v27, s0 dst_sel:DWORD dst_unused:UNUSED_PAD src0_sel:WORD_0 src1_sel:DWORD
	v_lshrrev_b32_e32 v87, 19, v18
	v_mul_lo_u16_e32 v18, 10, v87
	v_sub_u16_e32 v88, v27, v18
	v_add_u32_e32 v26, 0x2d9, v0
	v_lshlrev_b32_e32 v18, 3, v88
	v_mul_u32_u24_sdwa v78, v26, s0 dst_sel:DWORD dst_unused:UNUSED_PAD src0_sel:WORD_0 src1_sel:DWORD
	global_load_dwordx2 v[76:77], v18, s[8:9]
	v_lshrrev_b32_e32 v89, 19, v78
	v_mul_lo_u16_e32 v18, 10, v89
	v_sub_u16_e32 v90, v26, v18
	v_lshlrev_b32_e32 v18, 3, v90
	global_load_dwordx2 v[78:79], v18, s[8:9]
	ds_read_u16 v18, v1 offset:3240
	ds_read_u16 v91, v1 offset:3402
	;; [unrolled: 1-line block ×8, first 2 shown]
	s_waitcnt lgkmcnt(7)
	v_mul_f16_sdwa v98, v18, v5 dst_sel:DWORD dst_unused:UNUSED_PAD src0_sel:DWORD src1_sel:WORD_1
	v_fma_f16 v98, v60, v5, v98
	v_mul_f16_sdwa v60, v60, v5 dst_sel:DWORD dst_unused:UNUSED_PAD src0_sel:DWORD src1_sel:WORD_1
	v_fma_f16 v5, v18, v5, -v60
	s_waitcnt vmcnt(8)
	v_mul_f16_sdwa v18, v31, v62 dst_sel:DWORD dst_unused:UNUSED_PAD src0_sel:DWORD src1_sel:WORD_1
	v_fma_f16 v60, v59, v62, v18
	v_mul_f16_sdwa v18, v59, v62 dst_sel:DWORD dst_unused:UNUSED_PAD src0_sel:DWORD src1_sel:WORD_1
	v_fma_f16 v59, v31, v62, -v18
	s_waitcnt lgkmcnt(6)
	v_mul_f16_sdwa v18, v91, v63 dst_sel:DWORD dst_unused:UNUSED_PAD src0_sel:DWORD src1_sel:WORD_1
	v_fma_f16 v62, v58, v63, v18
	v_mul_f16_sdwa v18, v58, v63 dst_sel:DWORD dst_unused:UNUSED_PAD src0_sel:DWORD src1_sel:WORD_1
	v_fma_f16 v58, v91, v63, -v18
	s_waitcnt vmcnt(7)
	v_mul_f16_sdwa v18, v80, v64 dst_sel:DWORD dst_unused:UNUSED_PAD src0_sel:DWORD src1_sel:WORD_1
	v_fma_f16 v63, v57, v64, v18
	v_mul_f16_sdwa v18, v57, v64 dst_sel:DWORD dst_unused:UNUSED_PAD src0_sel:DWORD src1_sel:WORD_1
	v_fma_f16 v57, v80, v64, -v18
	;; [unrolled: 10-line block ×4, first 2 shown]
	ds_read_u16 v18, v1 offset:3888
	ds_read_u16 v31, v1 offset:4050
	;; [unrolled: 1-line block ×6, first 2 shown]
	s_waitcnt lgkmcnt(5)
	v_mul_f16_sdwa v91, v18, v69 dst_sel:DWORD dst_unused:UNUSED_PAD src0_sel:DWORD src1_sel:WORD_1
	v_fma_f16 v91, v56, v69, v91
	v_mul_f16_sdwa v56, v56, v69 dst_sel:DWORD dst_unused:UNUSED_PAD src0_sel:DWORD src1_sel:WORD_1
	v_fma_f16 v56, v18, v69, -v56
	s_waitcnt vmcnt(4)
	v_mul_f16_sdwa v18, v83, v70 dst_sel:DWORD dst_unused:UNUSED_PAD src0_sel:DWORD src1_sel:WORD_1
	v_fma_f16 v69, v47, v70, v18
	v_mul_f16_sdwa v18, v47, v70 dst_sel:DWORD dst_unused:UNUSED_PAD src0_sel:DWORD src1_sel:WORD_1
	v_fma_f16 v70, v83, v70, -v18
	s_waitcnt lgkmcnt(4)
	v_mul_f16_sdwa v18, v31, v71 dst_sel:DWORD dst_unused:UNUSED_PAD src0_sel:DWORD src1_sel:WORD_1
	v_fma_f16 v83, v53, v71, v18
	v_mul_f16_sdwa v18, v53, v71 dst_sel:DWORD dst_unused:UNUSED_PAD src0_sel:DWORD src1_sel:WORD_1
	v_fma_f16 v53, v31, v71, -v18
	s_waitcnt vmcnt(3)
	v_mul_f16_sdwa v18, v94, v72 dst_sel:DWORD dst_unused:UNUSED_PAD src0_sel:DWORD src1_sel:WORD_1
	v_fma_f16 v71, v48, v72, v18
	v_mul_f16_sdwa v18, v48, v72 dst_sel:DWORD dst_unused:UNUSED_PAD src0_sel:DWORD src1_sel:WORD_1
	v_fma_f16 v48, v94, v72, -v18
	s_waitcnt lgkmcnt(3)
	v_mul_f16_sdwa v18, v52, v73 dst_sel:DWORD dst_unused:UNUSED_PAD src0_sel:DWORD src1_sel:WORD_1
	v_fma_f16 v72, v50, v73, v18
	v_mul_f16_sdwa v18, v50, v73 dst_sel:DWORD dst_unused:UNUSED_PAD src0_sel:DWORD src1_sel:WORD_1
	v_fma_f16 v50, v52, v73, -v18
	v_sub_f16_e32 v31, v4, v5
	v_sub_f16_e32 v100, v68, v56
	;; [unrolled: 1-line block ×4, first 2 shown]
	s_movk_i32 s0, 0x89
	s_waitcnt vmcnt(2)
	v_mul_f16_sdwa v18, v95, v74 dst_sel:DWORD dst_unused:UNUSED_PAD src0_sel:DWORD src1_sel:WORD_1
	v_fma_f16 v73, v45, v74, v18
	v_mul_f16_sdwa v18, v45, v74 dst_sel:DWORD dst_unused:UNUSED_PAD src0_sel:DWORD src1_sel:WORD_1
	v_fma_f16 v45, v95, v74, -v18
	s_waitcnt lgkmcnt(2)
	v_mul_f16_sdwa v18, v80, v75 dst_sel:DWORD dst_unused:UNUSED_PAD src0_sel:DWORD src1_sel:WORD_1
	v_fma_f16 v74, v49, v75, v18
	v_mul_f16_sdwa v18, v49, v75 dst_sel:DWORD dst_unused:UNUSED_PAD src0_sel:DWORD src1_sel:WORD_1
	v_fma_f16 v49, v80, v75, -v18
	s_waitcnt vmcnt(1)
	v_mul_f16_sdwa v18, v96, v76 dst_sel:DWORD dst_unused:UNUSED_PAD src0_sel:DWORD src1_sel:WORD_1
	v_fma_f16 v75, v43, v76, v18
	v_mul_f16_sdwa v18, v43, v76 dst_sel:DWORD dst_unused:UNUSED_PAD src0_sel:DWORD src1_sel:WORD_1
	v_fma_f16 v43, v96, v76, -v18
	s_waitcnt lgkmcnt(1)
	v_mul_f16_sdwa v18, v81, v77 dst_sel:DWORD dst_unused:UNUSED_PAD src0_sel:DWORD src1_sel:WORD_1
	v_fma_f16 v76, v46, v77, v18
	v_mul_f16_sdwa v18, v46, v77 dst_sel:DWORD dst_unused:UNUSED_PAD src0_sel:DWORD src1_sel:WORD_1
	v_fma_f16 v46, v81, v77, -v18
	;; [unrolled: 10-line block ×3, first 2 shown]
	v_add_f16_e32 v18, v85, v98
	v_fma_f16 v18, v18, -0.5, v41
	v_fma_f16 v42, v31, s4, v18
	v_fma_f16 v31, v31, s5, v18
	ds_read_u16 v18, v1
	ds_read_u16 v79, v1 offset:162
	ds_read_u16 v81, v1 offset:324
	;; [unrolled: 1-line block ×7, first 2 shown]
	s_waitcnt lgkmcnt(7)
	v_add_f16_e32 v47, v18, v4
	v_add_f16_e32 v4, v4, v5
	v_fma_f16 v4, v4, -0.5, v18
	v_sub_f16_e32 v18, v85, v98
	v_add_f16_e32 v96, v47, v5
	v_add_f16_e32 v5, v41, v85
	v_fma_f16 v85, v18, s5, v4
	v_fma_f16 v97, v18, s4, v4
	v_add_f16_e32 v4, v60, v62
	v_fma_f16 v4, v4, -0.5, v40
	v_sub_f16_e32 v18, v59, v58
	v_fma_f16 v41, v18, s4, v4
	v_fma_f16 v4, v18, s5, v4
	v_add_f16_e32 v18, v63, v64
	v_fma_f16 v18, v18, -0.5, v39
	v_sub_f16_e32 v47, v57, v54
	v_fma_f16 v52, v47, s4, v18
	v_fma_f16 v47, v47, s5, v18
	v_add_f16_e32 v18, v65, v66
	v_add_f16_e32 v5, v5, v98
	v_fma_f16 v18, v18, -0.5, v38
	v_sub_f16_e32 v98, v55, v51
	v_fma_f16 v99, v98, s4, v18
	v_fma_f16 v98, v98, s5, v18
	v_add_f16_e32 v18, v67, v91
	v_fma_f16 v18, v18, -0.5, v37
	v_fma_f16 v101, v100, s4, v18
	v_fma_f16 v100, v100, s5, v18
	v_add_f16_e32 v18, v69, v83
	v_fma_f16 v18, v18, -0.5, v36
	;; [unrolled: 4-line block ×4, first 2 shown]
	v_sub_f16_e32 v106, v45, v49
	v_fma_f16 v107, v106, s4, v18
	v_fma_f16 v106, v106, s5, v18
	v_add_f16_e32 v18, v75, v76
	v_fma_f16 v18, v18, -0.5, v33
	v_sub_f16_e32 v108, v43, v46
	v_fma_f16 v109, v108, s4, v18
	v_fma_f16 v108, v108, s5, v18
	v_add_f16_e32 v18, v77, v80
	v_fma_f16 v18, v18, -0.5, v32
	v_sub_f16_e32 v110, v78, v44
	v_fma_f16 v111, v110, s4, v18
	v_fma_f16 v110, v110, s5, v18
	v_mov_b32_e32 v18, 1
	v_lshlrev_b32_sdwa v7, v18, v7 dst_sel:DWORD dst_unused:UNUSED_PAD src0_sel:DWORD src1_sel:BYTE_0
	v_add3_u32 v112, 0, v6, v7
	ds_read_u16 v113, v1 offset:1296
	s_waitcnt lgkmcnt(0)
	s_barrier
	ds_write_b16 v112, v5
	ds_write_b16 v112, v42 offset:20
	ds_write_b16 v112, v31 offset:40
	v_lshlrev_b32_sdwa v5, v18, v9 dst_sel:DWORD dst_unused:UNUSED_PAD src0_sel:DWORD src1_sel:BYTE_0
	v_mul_u32_u24_e32 v6, 60, v8
	v_add3_u32 v114, 0, v6, v5
	v_add_f16_e32 v5, v40, v60
	v_add_f16_e32 v5, v5, v62
	ds_write_b16 v114, v5
	ds_write_b16 v114, v41 offset:20
	ds_write_b16 v114, v4 offset:40
	v_lshlrev_b32_sdwa v4, v18, v12 dst_sel:DWORD dst_unused:UNUSED_PAD src0_sel:DWORD src1_sel:BYTE_0
	v_mul_u32_u24_e32 v5, 60, v11
	v_add3_u32 v115, 0, v5, v4
	v_add_f16_e32 v4, v39, v63
	v_add_f16_e32 v4, v4, v64
	ds_write_b16 v115, v4
	ds_write_b16 v115, v52 offset:20
	ds_write_b16 v115, v47 offset:40
	v_lshlrev_b32_e32 v4, 1, v14
	v_mul_u32_u24_e32 v5, 60, v13
	v_add3_u32 v116, 0, v5, v4
	v_add_f16_e32 v4, v38, v65
	v_add_f16_e32 v4, v4, v66
	ds_write_b16 v116, v4
	ds_write_b16 v116, v99 offset:20
	ds_write_b16 v116, v98 offset:40
	v_lshlrev_b32_e32 v4, 1, v16
	;; [unrolled: 8-line block ×7, first 2 shown]
	v_mul_u32_u24_e32 v5, 60, v89
	v_add3_u32 v87, 0, v5, v4
	v_add_f16_e32 v4, v32, v77
	v_add_f16_e32 v4, v4, v80
	ds_write_b16 v87, v4
	ds_write_b16 v87, v111 offset:20
	ds_write_b16 v87, v110 offset:40
	s_waitcnt lgkmcnt(0)
	s_barrier
	ds_read_u16 v35, v1 offset:3564
	ds_read_u16 v33, v1 offset:3726
	;; [unrolled: 1-line block ×6, first 2 shown]
	ds_read_u16 v14, v1
	ds_read_u16 v13, v1 offset:162
	ds_read_u16 v12, v1 offset:324
	;; [unrolled: 1-line block ×23, first 2 shown]
	s_waitcnt lgkmcnt(0)
	s_barrier
	ds_write_b16 v112, v96
	ds_write_b16 v112, v85 offset:20
	ds_write_b16 v112, v97 offset:40
	v_add_f16_e32 v85, v79, v59
	v_add_f16_e32 v85, v85, v58
	v_add_f16_e32 v58, v59, v58
	v_fma_f16 v58, v58, -0.5, v79
	v_sub_f16_e32 v59, v60, v62
	v_fma_f16 v60, v59, s5, v58
	v_fma_f16 v58, v59, s4, v58
	ds_write_b16 v114, v85
	ds_write_b16 v114, v60 offset:20
	ds_write_b16 v114, v58 offset:40
	v_add_f16_e32 v58, v81, v57
	v_add_f16_e32 v58, v58, v54
	v_add_f16_e32 v54, v57, v54
	v_fma_f16 v54, v54, -0.5, v81
	v_sub_f16_e32 v57, v63, v64
	v_fma_f16 v59, v57, s5, v54
	v_fma_f16 v54, v57, s4, v54
	;; [unrolled: 10-line block ×6, first 2 shown]
	v_add_f16_e32 v50, v95, v45
	v_add_f16_e32 v45, v45, v49
	v_add_f16_e32 v50, v50, v49
	v_fma_f16 v45, v45, -0.5, v95
	v_sub_f16_e32 v49, v73, v74
	v_fma_f16 v54, v49, s5, v45
	v_fma_f16 v45, v49, s4, v45
	v_add_f16_e32 v49, v113, v43
	v_add_f16_e32 v43, v43, v46
	v_add_f16_e32 v49, v49, v46
	v_fma_f16 v43, v43, -0.5, v113
	v_sub_f16_e32 v46, v75, v76
	v_fma_f16 v55, v46, s5, v43
	v_fma_f16 v43, v46, s4, v43
	;; [unrolled: 7-line block ×3, first 2 shown]
	ds_write_b16 v100, v51
	ds_write_b16 v100, v53 offset:20
	ds_write_b16 v100, v48 offset:40
	ds_write_b16 v61, v50
	ds_write_b16 v61, v54 offset:20
	ds_write_b16 v61, v45 offset:40
	;; [unrolled: 3-line block ×4, first 2 shown]
	v_mul_lo_u16_sdwa v43, v0, s0 dst_sel:DWORD dst_unused:UNUSED_PAD src0_sel:BYTE_0 src1_sel:DWORD
	v_lshrrev_b16_e32 v43, 12, v43
	v_mul_lo_u16_e32 v44, 30, v43
	v_sub_u16_e32 v44, v0, v44
	v_lshlrev_b32_sdwa v45, v10, v44 dst_sel:DWORD dst_unused:UNUSED_PAD src0_sel:DWORD src1_sel:BYTE_0
	s_waitcnt lgkmcnt(0)
	s_barrier
	global_load_dwordx2 v[57:58], v45, s[8:9] offset:80
	v_mul_lo_u16_sdwa v45, v17, s0 dst_sel:DWORD dst_unused:UNUSED_PAD src0_sel:BYTE_0 src1_sel:DWORD
	v_lshrrev_b16_e32 v45, 12, v45
	v_mul_lo_u16_e32 v46, 30, v45
	v_sub_u16_e32 v46, v17, v46
	v_lshlrev_b32_sdwa v48, v10, v46 dst_sel:DWORD dst_unused:UNUSED_PAD src0_sel:DWORD src1_sel:BYTE_0
	global_load_dwordx2 v[59:60], v48, s[8:9] offset:80
	v_mul_lo_u16_sdwa v48, v29, s0 dst_sel:DWORD dst_unused:UNUSED_PAD src0_sel:BYTE_0 src1_sel:DWORD
	v_lshrrev_b16_e32 v48, 12, v48
	v_mul_lo_u16_e32 v49, 30, v48
	v_sub_u16_e32 v49, v29, v49
	v_lshlrev_b32_sdwa v50, v10, v49 dst_sel:DWORD dst_unused:UNUSED_PAD src0_sel:DWORD src1_sel:BYTE_0
	s_mov_b32 s0, 0x8889
	global_load_dwordx2 v[61:62], v50, s[8:9] offset:80
	v_mul_u32_u24_sdwa v50, v24, s0 dst_sel:DWORD dst_unused:UNUSED_PAD src0_sel:WORD_0 src1_sel:DWORD
	v_lshrrev_b32_e32 v50, 20, v50
	v_mul_lo_u16_e32 v51, 30, v50
	v_sub_u16_e32 v51, v24, v51
	v_lshlrev_b32_e32 v53, 3, v51
	global_load_dwordx2 v[63:64], v53, s[8:9] offset:80
	v_mul_u32_u24_sdwa v53, v25, s0 dst_sel:DWORD dst_unused:UNUSED_PAD src0_sel:WORD_0 src1_sel:DWORD
	v_lshrrev_b32_e32 v53, 20, v53
	v_mul_lo_u16_e32 v54, 30, v53
	v_sub_u16_e32 v54, v25, v54
	v_lshlrev_b32_e32 v55, 3, v54
	;; [unrolled: 6-line block ×3, first 2 shown]
	v_mul_u32_u24_sdwa v69, v22, s0 dst_sel:DWORD dst_unused:UNUSED_PAD src0_sel:WORD_0 src1_sel:DWORD
	global_load_dwordx2 v[67:68], v67, s[8:9] offset:80
	v_lshrrev_b32_e32 v83, 20, v69
	v_mul_lo_u16_e32 v69, 30, v83
	ds_read_u16 v73, v1 offset:1620
	ds_read_u16 v77, v1 offset:1782
	;; [unrolled: 1-line block ×7, first 2 shown]
	v_sub_u16_e32 v84, v22, v69
	v_lshlrev_b32_e32 v69, 3, v84
	global_load_dwordx2 v[69:70], v69, s[8:9] offset:80
	v_mul_u32_u24_sdwa v75, v26, s0 dst_sel:DWORD dst_unused:UNUSED_PAD src0_sel:WORD_0 src1_sel:DWORD
	v_lshrrev_b32_e32 v89, 20, v75
	v_mul_lo_u16_e32 v75, 30, v89
	v_sub_u16_e32 v90, v26, v75
	v_lshlrev_b32_e32 v75, 3, v90
	global_load_dwordx2 v[75:76], v75, s[8:9] offset:80
	v_lshlrev_b32_sdwa v44, v18, v44 dst_sel:DWORD dst_unused:UNUSED_PAD src0_sel:DWORD src1_sel:BYTE_0
	v_mul_u32_u24_e32 v43, 0xb4, v43
	s_waitcnt vmcnt(7) lgkmcnt(6)
	v_mul_f16_sdwa v71, v73, v57 dst_sel:DWORD dst_unused:UNUSED_PAD src0_sel:DWORD src1_sel:WORD_1
	v_fma_f16 v85, v52, v57, v71
	v_mul_u32_u24_sdwa v71, v28, s0 dst_sel:DWORD dst_unused:UNUSED_PAD src0_sel:WORD_0 src1_sel:DWORD
	v_lshrrev_b32_e32 v86, 20, v71
	v_mul_lo_u16_e32 v71, 30, v86
	v_mul_f16_sdwa v52, v52, v57 dst_sel:DWORD dst_unused:UNUSED_PAD src0_sel:DWORD src1_sel:WORD_1
	v_sub_u16_e32 v87, v28, v71
	v_lshlrev_b32_e32 v71, 3, v87
	global_load_dwordx2 v[71:72], v71, s[8:9] offset:80
	v_fma_f16 v52, v73, v57, -v52
	v_mul_u32_u24_sdwa v57, v27, s0 dst_sel:DWORD dst_unused:UNUSED_PAD src0_sel:WORD_0 src1_sel:DWORD
	v_lshrrev_b32_e32 v57, 20, v57
	v_mul_lo_u16_e32 v73, 30, v57
	v_sub_u16_e32 v88, v27, v73
	v_lshlrev_b32_e32 v73, 3, v88
	global_load_dwordx2 v[73:74], v73, s[8:9] offset:80
	ds_read_u16 v91, v1 offset:3240
	ds_read_u16 v92, v1 offset:3402
	;; [unrolled: 1-line block ×8, first 2 shown]
	s_waitcnt lgkmcnt(7)
	v_mul_f16_sdwa v99, v91, v58 dst_sel:DWORD dst_unused:UNUSED_PAD src0_sel:DWORD src1_sel:WORD_1
	v_fma_f16 v99, v47, v58, v99
	v_mul_f16_sdwa v47, v47, v58 dst_sel:DWORD dst_unused:UNUSED_PAD src0_sel:DWORD src1_sel:WORD_1
	v_fma_f16 v47, v91, v58, -v47
	s_waitcnt vmcnt(8)
	v_mul_f16_sdwa v58, v77, v59 dst_sel:DWORD dst_unused:UNUSED_PAD src0_sel:DWORD src1_sel:WORD_1
	v_fma_f16 v58, v41, v59, v58
	v_mul_f16_sdwa v41, v41, v59 dst_sel:DWORD dst_unused:UNUSED_PAD src0_sel:DWORD src1_sel:WORD_1
	v_fma_f16 v59, v77, v59, -v41
	s_waitcnt lgkmcnt(6)
	v_mul_f16_sdwa v41, v92, v60 dst_sel:DWORD dst_unused:UNUSED_PAD src0_sel:DWORD src1_sel:WORD_1
	v_fma_f16 v77, v42, v60, v41
	v_mul_f16_sdwa v41, v42, v60 dst_sel:DWORD dst_unused:UNUSED_PAD src0_sel:DWORD src1_sel:WORD_1
	v_fma_f16 v60, v92, v60, -v41
	s_waitcnt vmcnt(7)
	v_mul_f16_sdwa v41, v78, v61 dst_sel:DWORD dst_unused:UNUSED_PAD src0_sel:DWORD src1_sel:WORD_1
	v_fma_f16 v91, v39, v61, v41
	v_mul_f16_sdwa v39, v39, v61 dst_sel:DWORD dst_unused:UNUSED_PAD src0_sel:DWORD src1_sel:WORD_1
	v_fma_f16 v61, v78, v61, -v39
	;; [unrolled: 10-line block ×4, first 2 shown]
	ds_read_u16 v33, v1 offset:3888
	ds_read_u16 v34, v1 offset:4050
	;; [unrolled: 1-line block ×6, first 2 shown]
	s_waitcnt lgkmcnt(5)
	v_mul_f16_sdwa v42, v33, v66 dst_sel:DWORD dst_unused:UNUSED_PAD src0_sel:DWORD src1_sel:WORD_1
	v_fma_f16 v80, v40, v66, v42
	v_mul_f16_sdwa v40, v40, v66 dst_sel:DWORD dst_unused:UNUSED_PAD src0_sel:DWORD src1_sel:WORD_1
	v_fma_f16 v66, v33, v66, -v40
	s_waitcnt vmcnt(4)
	v_mul_f16_sdwa v33, v81, v67 dst_sel:DWORD dst_unused:UNUSED_PAD src0_sel:DWORD src1_sel:WORD_1
	v_fma_f16 v94, v20, v67, v33
	v_mul_f16_sdwa v20, v20, v67 dst_sel:DWORD dst_unused:UNUSED_PAD src0_sel:DWORD src1_sel:WORD_1
	v_fma_f16 v67, v81, v67, -v20
	s_waitcnt lgkmcnt(4)
	v_mul_f16_sdwa v20, v34, v68 dst_sel:DWORD dst_unused:UNUSED_PAD src0_sel:DWORD src1_sel:WORD_1
	v_fma_f16 v81, v38, v68, v20
	v_mul_f16_sdwa v20, v38, v68 dst_sel:DWORD dst_unused:UNUSED_PAD src0_sel:DWORD src1_sel:WORD_1
	v_fma_f16 v68, v34, v68, -v20
	s_waitcnt vmcnt(3)
	v_mul_f16_sdwa v20, v95, v69 dst_sel:DWORD dst_unused:UNUSED_PAD src0_sel:DWORD src1_sel:WORD_1
	v_fma_f16 v100, v31, v69, v20
	v_mul_f16_sdwa v20, v31, v69 dst_sel:DWORD dst_unused:UNUSED_PAD src0_sel:DWORD src1_sel:WORD_1
	v_fma_f16 v69, v95, v69, -v20
	s_waitcnt lgkmcnt(3)
	v_mul_f16_sdwa v20, v35, v70 dst_sel:DWORD dst_unused:UNUSED_PAD src0_sel:DWORD src1_sel:WORD_1
	v_fma_f16 v95, v36, v70, v20
	v_mul_f16_sdwa v20, v36, v70 dst_sel:DWORD dst_unused:UNUSED_PAD src0_sel:DWORD src1_sel:WORD_1
	v_fma_f16 v70, v35, v70, -v20
	v_sub_f16_e32 v33, v61, v62
	v_sub_f16_e32 v35, v63, v64
	s_waitcnt vmcnt(1)
	v_mul_f16_sdwa v20, v96, v71 dst_sel:DWORD dst_unused:UNUSED_PAD src0_sel:DWORD src1_sel:WORD_1
	v_fma_f16 v101, v21, v71, v20
	v_mul_f16_sdwa v20, v21, v71 dst_sel:DWORD dst_unused:UNUSED_PAD src0_sel:DWORD src1_sel:WORD_1
	v_fma_f16 v71, v96, v71, -v20
	s_waitcnt lgkmcnt(2)
	v_mul_f16_sdwa v20, v37, v72 dst_sel:DWORD dst_unused:UNUSED_PAD src0_sel:DWORD src1_sel:WORD_1
	v_fma_f16 v96, v32, v72, v20
	v_mul_f16_sdwa v20, v32, v72 dst_sel:DWORD dst_unused:UNUSED_PAD src0_sel:DWORD src1_sel:WORD_1
	v_fma_f16 v72, v37, v72, -v20
	s_waitcnt vmcnt(0)
	v_mul_f16_sdwa v20, v97, v73 dst_sel:DWORD dst_unused:UNUSED_PAD src0_sel:DWORD src1_sel:WORD_1
	v_fma_f16 v102, v16, v73, v20
	v_mul_f16_sdwa v16, v16, v73 dst_sel:DWORD dst_unused:UNUSED_PAD src0_sel:DWORD src1_sel:WORD_1
	s_waitcnt lgkmcnt(1)
	v_mul_f16_sdwa v20, v39, v74 dst_sel:DWORD dst_unused:UNUSED_PAD src0_sel:DWORD src1_sel:WORD_1
	v_fma_f16 v16, v97, v73, -v16
	v_fma_f16 v73, v30, v74, v20
	v_mul_f16_sdwa v20, v30, v74 dst_sel:DWORD dst_unused:UNUSED_PAD src0_sel:DWORD src1_sel:WORD_1
	v_fma_f16 v30, v39, v74, -v20
	v_mul_f16_sdwa v20, v98, v75 dst_sel:DWORD dst_unused:UNUSED_PAD src0_sel:DWORD src1_sel:WORD_1
	v_fma_f16 v74, v15, v75, v20
	v_mul_f16_sdwa v15, v15, v75 dst_sel:DWORD dst_unused:UNUSED_PAD src0_sel:DWORD src1_sel:WORD_1
	s_waitcnt lgkmcnt(0)
	v_mul_f16_sdwa v20, v41, v76 dst_sel:DWORD dst_unused:UNUSED_PAD src0_sel:DWORD src1_sel:WORD_1
	v_fma_f16 v15, v98, v75, -v15
	v_fma_f16 v75, v19, v76, v20
	v_mul_f16_sdwa v19, v19, v76 dst_sel:DWORD dst_unused:UNUSED_PAD src0_sel:DWORD src1_sel:WORD_1
	v_fma_f16 v76, v41, v76, -v19
	v_add_f16_e32 v19, v85, v99
	v_fma_f16 v19, v19, -0.5, v14
	v_sub_f16_e32 v20, v52, v47
	v_fma_f16 v21, v20, s4, v19
	v_fma_f16 v19, v20, s5, v19
	ds_read_u16 v20, v1
	ds_read_u16 v97, v1 offset:162
	ds_read_u16 v98, v1 offset:324
	;; [unrolled: 1-line block ×7, first 2 shown]
	s_waitcnt lgkmcnt(7)
	v_add_f16_e32 v31, v20, v52
	v_add_f16_e32 v108, v31, v47
	;; [unrolled: 1-line block ×3, first 2 shown]
	v_fma_f16 v20, v31, -0.5, v20
	v_add_f16_e32 v14, v14, v85
	v_sub_f16_e32 v31, v85, v99
	v_add_f16_e32 v14, v14, v99
	v_fma_f16 v85, v31, s5, v20
	v_fma_f16 v99, v31, s4, v20
	v_add_f16_e32 v20, v58, v77
	v_fma_f16 v20, v20, -0.5, v13
	v_sub_f16_e32 v31, v59, v60
	v_fma_f16 v32, v31, s4, v20
	v_fma_f16 v20, v31, s5, v20
	v_add_f16_e32 v31, v91, v78
	v_fma_f16 v31, v31, -0.5, v12
	v_fma_f16 v34, v33, s4, v31
	v_fma_f16 v31, v33, s5, v31
	v_add_f16_e32 v33, v92, v79
	v_fma_f16 v33, v33, -0.5, v11
	;; [unrolled: 4-line block ×3, first 2 shown]
	v_sub_f16_e32 v37, v65, v66
	v_fma_f16 v38, v37, s4, v35
	v_fma_f16 v35, v37, s5, v35
	v_add_f16_e32 v37, v94, v81
	v_fma_f16 v37, v37, -0.5, v8
	v_sub_f16_e32 v39, v67, v68
	v_fma_f16 v40, v39, s4, v37
	v_fma_f16 v37, v39, s5, v37
	v_add_f16_e32 v39, v100, v95
	v_fma_f16 v39, v39, -0.5, v7
	;; [unrolled: 5-line block ×5, first 2 shown]
	v_sub_f16_e32 v111, v15, v76
	v_fma_f16 v112, v111, s4, v109
	v_fma_f16 v109, v111, s5, v109
	v_add3_u32 v111, 0, v43, v44
	ds_read_u16 v113, v1 offset:1296
	s_waitcnt lgkmcnt(0)
	s_barrier
	ds_write_b16 v111, v14
	ds_write_b16 v111, v21 offset:60
	ds_write_b16 v111, v19 offset:120
	v_lshlrev_b32_sdwa v14, v18, v46 dst_sel:DWORD dst_unused:UNUSED_PAD src0_sel:DWORD src1_sel:BYTE_0
	v_mul_u32_u24_e32 v19, 0xb4, v45
	v_add_f16_e32 v13, v13, v58
	v_add3_u32 v14, 0, v19, v14
	v_add_f16_e32 v13, v13, v77
	ds_write_b16 v14, v13
	ds_write_b16 v14, v32 offset:60
	ds_write_b16 v14, v20 offset:120
	v_lshlrev_b32_sdwa v13, v18, v49 dst_sel:DWORD dst_unused:UNUSED_PAD src0_sel:DWORD src1_sel:BYTE_0
	v_mul_u32_u24_e32 v19, 0xb4, v48
	v_add_f16_e32 v12, v12, v91
	v_add3_u32 v13, 0, v19, v13
	v_add_f16_e32 v12, v12, v78
	ds_write_b16 v13, v12
	ds_write_b16 v13, v34 offset:60
	ds_write_b16 v13, v31 offset:120
	v_lshlrev_b32_e32 v12, 1, v51
	v_mul_u32_u24_e32 v19, 0xb4, v50
	v_add_f16_e32 v11, v11, v92
	v_add3_u32 v12, 0, v19, v12
	v_add_f16_e32 v11, v11, v79
	ds_write_b16 v12, v11
	ds_write_b16 v12, v36 offset:60
	ds_write_b16 v12, v33 offset:120
	v_lshlrev_b32_e32 v11, 1, v54
	;; [unrolled: 8-line block ×7, first 2 shown]
	v_mul_u32_u24_e32 v19, 0xb4, v89
	v_add_f16_e32 v4, v4, v74
	v_add3_u32 v5, 0, v19, v5
	v_add_f16_e32 v4, v4, v75
	ds_write_b16 v5, v4
	ds_write_b16 v5, v112 offset:60
	ds_write_b16 v5, v109 offset:120
	v_add_f16_e32 v4, v97, v59
	v_add_f16_e32 v59, v59, v60
	;; [unrolled: 1-line block ×3, first 2 shown]
	v_fma_f16 v59, v59, -0.5, v97
	v_sub_f16_e32 v58, v58, v77
	s_waitcnt lgkmcnt(0)
	s_barrier
	ds_read_u16 v48, v1 offset:3564
	ds_read_u16 v46, v1 offset:3726
	;; [unrolled: 1-line block ×6, first 2 shown]
	ds_read_u16 v37, v1
	ds_read_u16 v36, v1 offset:162
	ds_read_u16 v35, v1 offset:324
	;; [unrolled: 1-line block ×23, first 2 shown]
	s_waitcnt lgkmcnt(0)
	s_barrier
	ds_write_b16 v111, v108
	ds_write_b16 v111, v85 offset:60
	ds_write_b16 v111, v99 offset:120
	v_fma_f16 v60, v58, s5, v59
	v_fma_f16 v58, v58, s4, v59
	ds_write_b16 v14, v4
	ds_write_b16 v14, v60 offset:60
	ds_write_b16 v14, v58 offset:120
	v_add_f16_e32 v4, v98, v61
	v_add_f16_e32 v14, v61, v62
	v_add_f16_e32 v4, v4, v62
	v_fma_f16 v14, v14, -0.5, v98
	v_sub_f16_e32 v58, v91, v78
	v_fma_f16 v59, v58, s5, v14
	v_fma_f16 v14, v58, s4, v14
	ds_write_b16 v13, v4
	ds_write_b16 v13, v59 offset:60
	ds_write_b16 v13, v14 offset:120
	v_add_f16_e32 v4, v103, v63
	v_add_f16_e32 v13, v63, v64
	v_add_f16_e32 v4, v4, v64
	v_fma_f16 v13, v13, -0.5, v103
	v_sub_f16_e32 v14, v92, v79
	;; [unrolled: 10-line block ×3, first 2 shown]
	v_fma_f16 v14, v13, s5, v12
	v_fma_f16 v12, v13, s4, v12
	ds_write_b16 v11, v4
	ds_write_b16 v11, v14 offset:60
	ds_write_b16 v11, v12 offset:120
	v_add_f16_e32 v11, v67, v68
	v_add_f16_e32 v4, v105, v67
	v_fma_f16 v11, v11, -0.5, v105
	v_sub_f16_e32 v12, v94, v81
	v_add_f16_e32 v4, v4, v68
	v_fma_f16 v13, v12, s5, v11
	v_fma_f16 v11, v12, s4, v11
	ds_write_b16 v9, v4
	ds_write_b16 v9, v13 offset:60
	ds_write_b16 v9, v11 offset:120
	v_add_f16_e32 v13, v71, v72
	v_fma_f16 v13, v13, -0.5, v107
	v_sub_f16_e32 v14, v101, v96
	v_fma_f16 v58, v14, s5, v13
	v_fma_f16 v13, v14, s4, v13
	v_add_f16_e32 v14, v113, v16
	v_add_f16_e32 v16, v16, v30
	;; [unrolled: 1-line block ×4, first 2 shown]
	v_fma_f16 v16, v16, -0.5, v113
	v_sub_f16_e32 v30, v102, v73
	v_add_f16_e32 v4, v106, v69
	v_fma_f16 v9, v9, -0.5, v106
	v_sub_f16_e32 v11, v100, v95
	v_fma_f16 v59, v30, s5, v16
	v_fma_f16 v16, v30, s4, v16
	v_add_f16_e32 v30, v82, v15
	v_add_f16_e32 v15, v15, v76
	v_add_f16_e32 v4, v4, v70
	v_fma_f16 v12, v11, s5, v9
	v_fma_f16 v9, v11, s4, v9
	v_add_f16_e32 v11, v107, v71
	v_fma_f16 v15, v15, -0.5, v82
	v_sub_f16_e32 v60, v74, v75
	v_add_f16_e32 v11, v11, v72
	v_add_f16_e32 v30, v30, v76
	v_fma_f16 v61, v60, s5, v15
	v_fma_f16 v15, v60, s4, v15
	ds_write_b16 v8, v4
	ds_write_b16 v8, v12 offset:60
	ds_write_b16 v8, v9 offset:120
	ds_write_b16 v7, v11
	ds_write_b16 v7, v58 offset:60
	ds_write_b16 v7, v13 offset:120
	;; [unrolled: 3-line block ×4, first 2 shown]
	v_lshlrev_b32_e32 v4, 1, v0
	v_mov_b32_e32 v5, 0
	v_lshlrev_b64 v[6:7], 2, v[4:5]
	v_mov_b32_e32 v30, s9
	v_add_co_u32_e64 v6, s[0:1], s8, v6
	v_addc_co_u32_e64 v7, s[0:1], v30, v7, s[0:1]
	s_waitcnt lgkmcnt(0)
	s_barrier
	global_load_dwordx2 v[11:12], v[6:7], off offset:320
	v_add_u32_e32 v8, -9, v0
	v_cmp_gt_u32_e64 s[0:1], 9, v0
	v_cndmask_b32_e64 v8, v8, v17, s[0:1]
	v_lshlrev_b32_e32 v8, 1, v8
	v_mov_b32_e32 v9, v5
	v_lshlrev_b64 v[13:14], 2, v[8:9]
	v_add_co_u32_e64 v13, s[0:1], s8, v13
	v_addc_co_u32_e64 v14, s[0:1], v30, v14, s[0:1]
	global_load_dwordx2 v[15:16], v[13:14], off offset:320
	s_movk_i32 s0, 0xb7
	v_mul_lo_u16_sdwa v9, v29, s0 dst_sel:DWORD dst_unused:UNUSED_PAD src0_sel:BYTE_0 src1_sel:DWORD
	s_movk_i32 s0, 0x2d83
	v_mul_u32_u24_sdwa v61, v25, s0 dst_sel:DWORD dst_unused:UNUSED_PAD src0_sel:WORD_0 src1_sel:DWORD
	v_lshrrev_b16_e32 v59, 14, v9
	v_lshrrev_b32_e32 v61, 20, v61
	v_mul_lo_u16_e32 v9, 0x5a, v59
	v_mul_lo_u16_e32 v62, 0x5a, v61
	v_sub_u16_e32 v65, v29, v9
	v_sub_u16_e32 v62, v25, v62
	v_lshlrev_b32_sdwa v9, v10, v65 dst_sel:DWORD dst_unused:UNUSED_PAD src0_sel:DWORD src1_sel:BYTE_0
	v_lshlrev_b32_e32 v63, 3, v62
	global_load_dwordx2 v[13:14], v9, s[8:9] offset:320
	global_load_dwordx2 v[66:67], v63, s[8:9] offset:320
	v_mul_u32_u24_sdwa v9, v24, s0 dst_sel:DWORD dst_unused:UNUSED_PAD src0_sel:WORD_0 src1_sel:DWORD
	v_lshrrev_b32_e32 v58, 20, v9
	v_mul_lo_u16_e32 v9, 0x5a, v58
	v_sub_u16_e32 v60, v24, v9
	v_lshlrev_b32_e32 v9, 3, v60
	global_load_dwordx2 v[9:10], v9, s[8:9] offset:320
	v_mul_u32_u24_sdwa v63, v23, s0 dst_sel:DWORD dst_unused:UNUSED_PAD src0_sel:WORD_0 src1_sel:DWORD
	v_lshrrev_b32_e32 v63, 20, v63
	v_mul_lo_u16_e32 v64, 0x5a, v63
	v_sub_u16_e32 v64, v23, v64
	v_lshlrev_b32_e32 v68, 3, v64
	global_load_dwordx2 v[68:69], v68, s[8:9] offset:320
	v_mul_u32_u24_sdwa v70, v22, s0 dst_sel:DWORD dst_unused:UNUSED_PAD src0_sel:WORD_0 src1_sel:DWORD
	v_lshrrev_b32_e32 v84, 20, v70
	v_mul_lo_u16_e32 v70, 0x5a, v84
	ds_read_u16 v74, v1 offset:1620
	ds_read_u16 v78, v1 offset:1782
	;; [unrolled: 1-line block ×7, first 2 shown]
	v_sub_u16_e32 v85, v22, v70
	v_lshlrev_b32_e32 v70, 3, v85
	global_load_dwordx2 v[70:71], v70, s[8:9] offset:320
	v_mul_u32_u24_sdwa v76, v26, s0 dst_sel:DWORD dst_unused:UNUSED_PAD src0_sel:WORD_0 src1_sel:DWORD
	v_lshrrev_b32_e32 v76, 20, v76
	v_mul_lo_u16_e32 v76, 0x5a, v76
	v_sub_u16_e32 v90, v26, v76
	v_lshlrev_b32_e32 v76, 3, v90
	global_load_dwordx2 v[76:77], v76, s[8:9] offset:320
	v_lshlrev_b32_sdwa v18, v18, v65 dst_sel:DWORD dst_unused:UNUSED_PAD src0_sel:DWORD src1_sel:BYTE_0
	s_waitcnt vmcnt(7) lgkmcnt(6)
	v_mul_f16_sdwa v72, v74, v11 dst_sel:DWORD dst_unused:UNUSED_PAD src0_sel:DWORD src1_sel:WORD_1
	v_fma_f16 v86, v57, v11, v72
	v_mul_u32_u24_sdwa v72, v28, s0 dst_sel:DWORD dst_unused:UNUSED_PAD src0_sel:WORD_0 src1_sel:DWORD
	v_lshrrev_b32_e32 v87, 20, v72
	v_mul_lo_u16_e32 v72, 0x5a, v87
	v_mul_f16_sdwa v57, v57, v11 dst_sel:DWORD dst_unused:UNUSED_PAD src0_sel:DWORD src1_sel:WORD_1
	v_sub_u16_e32 v88, v28, v72
	v_lshlrev_b32_e32 v72, 3, v88
	global_load_dwordx2 v[72:73], v72, s[8:9] offset:320
	v_fma_f16 v11, v74, v11, -v57
	v_mul_u32_u24_sdwa v57, v27, s0 dst_sel:DWORD dst_unused:UNUSED_PAD src0_sel:WORD_0 src1_sel:DWORD
	v_lshrrev_b32_e32 v57, 20, v57
	v_mul_lo_u16_e32 v74, 0x5a, v57
	v_sub_u16_e32 v89, v27, v74
	v_lshlrev_b32_e32 v74, 3, v89
	global_load_dwordx2 v[74:75], v74, s[8:9] offset:320
	ds_read_u16 v91, v1 offset:3240
	ds_read_u16 v92, v1 offset:3402
	;; [unrolled: 1-line block ×8, first 2 shown]
	s_waitcnt lgkmcnt(7)
	v_mul_f16_sdwa v99, v91, v12 dst_sel:DWORD dst_unused:UNUSED_PAD src0_sel:DWORD src1_sel:WORD_1
	v_fma_f16 v99, v56, v12, v99
	v_mul_f16_sdwa v56, v56, v12 dst_sel:DWORD dst_unused:UNUSED_PAD src0_sel:DWORD src1_sel:WORD_1
	v_fma_f16 v12, v91, v12, -v56
	s_waitcnt vmcnt(8)
	v_mul_f16_sdwa v56, v78, v15 dst_sel:DWORD dst_unused:UNUSED_PAD src0_sel:DWORD src1_sel:WORD_1
	v_fma_f16 v56, v54, v15, v56
	v_mul_f16_sdwa v54, v54, v15 dst_sel:DWORD dst_unused:UNUSED_PAD src0_sel:DWORD src1_sel:WORD_1
	v_fma_f16 v15, v78, v15, -v54
	s_waitcnt lgkmcnt(6)
	v_mul_f16_sdwa v54, v92, v16 dst_sel:DWORD dst_unused:UNUSED_PAD src0_sel:DWORD src1_sel:WORD_1
	v_fma_f16 v54, v55, v16, v54
	v_mul_f16_sdwa v55, v55, v16 dst_sel:DWORD dst_unused:UNUSED_PAD src0_sel:DWORD src1_sel:WORD_1
	v_fma_f16 v16, v92, v16, -v55
	s_waitcnt vmcnt(7)
	v_mul_f16_sdwa v55, v79, v13 dst_sel:DWORD dst_unused:UNUSED_PAD src0_sel:DWORD src1_sel:WORD_1
	v_fma_f16 v78, v52, v13, v55
	v_mul_f16_sdwa v52, v52, v13 dst_sel:DWORD dst_unused:UNUSED_PAD src0_sel:DWORD src1_sel:WORD_1
	v_fma_f16 v13, v79, v13, -v52
	;; [unrolled: 10-line block ×3, first 2 shown]
	s_waitcnt lgkmcnt(4)
	v_mul_f16_sdwa v48, v94, v10 dst_sel:DWORD dst_unused:UNUSED_PAD src0_sel:DWORD src1_sel:WORD_1
	v_fma_f16 v80, v46, v10, v48
	v_mul_f16_sdwa v46, v46, v10 dst_sel:DWORD dst_unused:UNUSED_PAD src0_sel:DWORD src1_sel:WORD_1
	v_fma_f16 v10, v94, v10, -v46
	v_mul_f16_sdwa v46, v81, v66 dst_sel:DWORD dst_unused:UNUSED_PAD src0_sel:DWORD src1_sel:WORD_1
	v_fma_f16 v92, v47, v66, v46
	v_mul_f16_sdwa v46, v47, v66 dst_sel:DWORD dst_unused:UNUSED_PAD src0_sel:DWORD src1_sel:WORD_1
	v_fma_f16 v66, v81, v66, -v46
	ds_read_u16 v46, v1 offset:3888
	ds_read_u16 v47, v1 offset:4050
	;; [unrolled: 1-line block ×6, first 2 shown]
	s_waitcnt lgkmcnt(5)
	v_mul_f16_sdwa v81, v46, v67 dst_sel:DWORD dst_unused:UNUSED_PAD src0_sel:DWORD src1_sel:WORD_1
	v_fma_f16 v81, v53, v67, v81
	v_mul_f16_sdwa v53, v53, v67 dst_sel:DWORD dst_unused:UNUSED_PAD src0_sel:DWORD src1_sel:WORD_1
	v_fma_f16 v67, v46, v67, -v53
	s_waitcnt vmcnt(4)
	v_mul_f16_sdwa v46, v82, v68 dst_sel:DWORD dst_unused:UNUSED_PAD src0_sel:DWORD src1_sel:WORD_1
	v_fma_f16 v93, v41, v68, v46
	v_mul_f16_sdwa v41, v41, v68 dst_sel:DWORD dst_unused:UNUSED_PAD src0_sel:DWORD src1_sel:WORD_1
	v_fma_f16 v68, v82, v68, -v41
	s_waitcnt lgkmcnt(4)
	v_mul_f16_sdwa v41, v47, v69 dst_sel:DWORD dst_unused:UNUSED_PAD src0_sel:DWORD src1_sel:WORD_1
	v_fma_f16 v82, v51, v69, v41
	v_mul_f16_sdwa v41, v51, v69 dst_sel:DWORD dst_unused:UNUSED_PAD src0_sel:DWORD src1_sel:WORD_1
	v_fma_f16 v69, v47, v69, -v41
	s_waitcnt vmcnt(3)
	v_mul_f16_sdwa v41, v95, v70 dst_sel:DWORD dst_unused:UNUSED_PAD src0_sel:DWORD src1_sel:WORD_1
	v_fma_f16 v94, v44, v70, v41
	v_mul_f16_sdwa v41, v44, v70 dst_sel:DWORD dst_unused:UNUSED_PAD src0_sel:DWORD src1_sel:WORD_1
	v_fma_f16 v70, v95, v70, -v41
	s_waitcnt lgkmcnt(3)
	v_mul_f16_sdwa v41, v48, v71 dst_sel:DWORD dst_unused:UNUSED_PAD src0_sel:DWORD src1_sel:WORD_1
	v_fma_f16 v95, v49, v71, v41
	v_mul_f16_sdwa v41, v49, v71 dst_sel:DWORD dst_unused:UNUSED_PAD src0_sel:DWORD src1_sel:WORD_1
	v_fma_f16 v71, v48, v71, -v41
	v_cmp_lt_u32_e64 s[0:1], 8, v0
	v_sub_f16_e32 v47, v68, v69
	v_sub_f16_e32 v49, v70, v71
	s_waitcnt vmcnt(1)
	v_mul_f16_sdwa v41, v96, v72 dst_sel:DWORD dst_unused:UNUSED_PAD src0_sel:DWORD src1_sel:WORD_1
	v_fma_f16 v100, v42, v72, v41
	v_mul_f16_sdwa v41, v42, v72 dst_sel:DWORD dst_unused:UNUSED_PAD src0_sel:DWORD src1_sel:WORD_1
	v_fma_f16 v72, v96, v72, -v41
	s_waitcnt lgkmcnt(2)
	v_mul_f16_sdwa v41, v50, v73 dst_sel:DWORD dst_unused:UNUSED_PAD src0_sel:DWORD src1_sel:WORD_1
	v_fma_f16 v96, v45, v73, v41
	v_mul_f16_sdwa v41, v45, v73 dst_sel:DWORD dst_unused:UNUSED_PAD src0_sel:DWORD src1_sel:WORD_1
	v_fma_f16 v73, v50, v73, -v41
	s_waitcnt vmcnt(0)
	v_mul_f16_sdwa v41, v97, v74 dst_sel:DWORD dst_unused:UNUSED_PAD src0_sel:DWORD src1_sel:WORD_1
	v_fma_f16 v101, v39, v74, v41
	v_mul_f16_sdwa v39, v39, v74 dst_sel:DWORD dst_unused:UNUSED_PAD src0_sel:DWORD src1_sel:WORD_1
	v_fma_f16 v74, v97, v74, -v39
	s_waitcnt lgkmcnt(1)
	v_mul_f16_sdwa v39, v52, v75 dst_sel:DWORD dst_unused:UNUSED_PAD src0_sel:DWORD src1_sel:WORD_1
	v_fma_f16 v97, v43, v75, v39
	v_mul_f16_sdwa v39, v43, v75 dst_sel:DWORD dst_unused:UNUSED_PAD src0_sel:DWORD src1_sel:WORD_1
	v_fma_f16 v75, v52, v75, -v39
	v_mul_f16_sdwa v39, v98, v76 dst_sel:DWORD dst_unused:UNUSED_PAD src0_sel:DWORD src1_sel:WORD_1
	v_fma_f16 v102, v38, v76, v39
	v_mul_f16_sdwa v38, v38, v76 dst_sel:DWORD dst_unused:UNUSED_PAD src0_sel:DWORD src1_sel:WORD_1
	v_fma_f16 v76, v98, v76, -v38
	s_waitcnt lgkmcnt(0)
	v_mul_f16_sdwa v38, v55, v77 dst_sel:DWORD dst_unused:UNUSED_PAD src0_sel:DWORD src1_sel:WORD_1
	v_fma_f16 v98, v40, v77, v38
	v_mul_f16_sdwa v38, v40, v77 dst_sel:DWORD dst_unused:UNUSED_PAD src0_sel:DWORD src1_sel:WORD_1
	v_fma_f16 v77, v55, v77, -v38
	v_mov_b32_e32 v38, 0x21c
	v_cndmask_b32_e64 v38, 0, v38, s[0:1]
	v_add3_u32 v8, 0, v38, v8
	v_add_f16_e32 v38, v86, v99
	v_fma_f16 v38, v38, -0.5, v37
	v_sub_f16_e32 v39, v11, v12
	v_fma_f16 v40, v39, s4, v38
	v_fma_f16 v38, v39, s5, v38
	ds_read_u16 v39, v1
	ds_read_u16 v41, v1 offset:162
	ds_read_u16 v65, v1 offset:324
	;; [unrolled: 1-line block ×7, first 2 shown]
	s_waitcnt lgkmcnt(7)
	v_add_f16_e32 v42, v39, v11
	v_add_f16_e32 v11, v11, v12
	v_add_f16_e32 v108, v42, v12
	v_fma_f16 v11, v11, -0.5, v39
	v_add_f16_e32 v12, v37, v86
	v_sub_f16_e32 v37, v86, v99
	v_fma_f16 v86, v37, s5, v11
	v_fma_f16 v11, v37, s4, v11
	v_add_f16_e32 v37, v56, v54
	v_fma_f16 v37, v37, -0.5, v36
	v_sub_f16_e32 v39, v15, v16
	v_fma_f16 v42, v39, s4, v37
	v_fma_f16 v37, v39, s5, v37
	s_waitcnt lgkmcnt(6)
	v_add_f16_e32 v39, v41, v15
	v_add_f16_e32 v12, v12, v99
	v_add_f16_e32 v99, v39, v16
	v_add_f16_e32 v15, v15, v16
	v_add_f16_e32 v16, v36, v56
	v_fma_f16 v15, v15, -0.5, v41
	v_add_f16_e32 v16, v16, v54
	v_sub_f16_e32 v36, v56, v54
	v_fma_f16 v109, v36, s5, v15
	v_fma_f16 v15, v36, s4, v15
	v_add_f16_e32 v36, v78, v79
	ds_read_u16 v110, v1 offset:1296
	s_waitcnt lgkmcnt(0)
	s_barrier
	ds_write_b16 v1, v12
	ds_write_b16 v1, v40 offset:180
	ds_write_b16 v1, v38 offset:360
	ds_write_b16 v8, v16
	ds_write_b16 v8, v42 offset:180
	ds_write_b16 v8, v37 offset:360
	v_mul_u32_u24_e32 v12, 0x21c, v59
	v_add_f16_e32 v16, v35, v78
	v_fma_f16 v36, v36, -0.5, v35
	v_sub_f16_e32 v39, v13, v14
	v_add3_u32 v12, 0, v12, v18
	v_add_f16_e32 v16, v16, v79
	v_fma_f16 v41, v39, s4, v36
	v_fma_f16 v36, v39, s5, v36
	v_add_f16_e32 v39, v91, v80
	ds_write_b16 v12, v16
	ds_write_b16 v12, v41 offset:180
	ds_write_b16 v12, v36 offset:360
	v_lshlrev_b32_e32 v16, 1, v60
	v_mul_u32_u24_e32 v18, 0x21c, v58
	v_fma_f16 v39, v39, -0.5, v34
	v_sub_f16_e32 v43, v9, v10
	v_add3_u32 v16, 0, v18, v16
	v_add_f16_e32 v18, v34, v91
	v_fma_f16 v44, v43, s4, v39
	v_fma_f16 v39, v43, s5, v39
	v_add_f16_e32 v43, v92, v81
	v_add_f16_e32 v18, v18, v80
	v_fma_f16 v43, v43, -0.5, v33
	v_sub_f16_e32 v45, v66, v67
	ds_write_b16 v16, v18
	ds_write_b16 v16, v44 offset:180
	ds_write_b16 v16, v39 offset:360
	v_lshlrev_b32_e32 v18, 1, v62
	v_mul_u32_u24_e32 v34, 0x21c, v61
	v_add_f16_e32 v33, v33, v92
	v_fma_f16 v46, v45, s4, v43
	v_fma_f16 v43, v45, s5, v43
	v_add_f16_e32 v45, v93, v82
	v_add3_u32 v18, 0, v34, v18
	v_add_f16_e32 v33, v33, v81
	v_fma_f16 v45, v45, -0.5, v32
	ds_write_b16 v18, v33
	ds_write_b16 v18, v46 offset:180
	ds_write_b16 v18, v43 offset:360
	v_lshlrev_b32_e32 v33, 1, v64
	v_mul_u32_u24_e32 v34, 0x21c, v63
	v_add_f16_e32 v32, v32, v93
	v_fma_f16 v48, v47, s4, v45
	v_fma_f16 v45, v47, s5, v45
	v_add_f16_e32 v47, v94, v95
	v_add3_u32 v61, 0, v34, v33
	v_add_f16_e32 v32, v32, v82
	v_fma_f16 v47, v47, -0.5, v31
	ds_write_b16 v61, v32
	ds_write_b16 v61, v48 offset:180
	ds_write_b16 v61, v45 offset:360
	v_lshlrev_b32_e32 v32, 1, v85
	v_mul_u32_u24_e32 v33, 0x21c, v84
	v_add_f16_e32 v31, v31, v94
	v_fma_f16 v50, v49, s4, v47
	v_fma_f16 v47, v49, s5, v47
	v_add_f16_e32 v49, v100, v96
	v_add3_u32 v62, 0, v33, v32
	v_add_f16_e32 v31, v31, v95
	v_fma_f16 v49, v49, -0.5, v21
	v_sub_f16_e32 v51, v72, v73
	ds_write_b16 v62, v31
	ds_write_b16 v62, v50 offset:180
	ds_write_b16 v62, v47 offset:360
	v_lshlrev_b32_e32 v31, 1, v88
	v_mul_u32_u24_e32 v32, 0x21c, v87
	v_add_f16_e32 v21, v21, v100
	v_fma_f16 v52, v51, s4, v49
	v_fma_f16 v49, v51, s5, v49
	v_add_f16_e32 v51, v101, v97
	v_add3_u32 v63, 0, v32, v31
	v_add_f16_e32 v21, v21, v96
	v_fma_f16 v51, v51, -0.5, v19
	v_sub_f16_e32 v53, v74, v75
	ds_write_b16 v63, v21
	ds_write_b16 v63, v52 offset:180
	ds_write_b16 v63, v49 offset:360
	v_lshlrev_b32_e32 v21, 1, v89
	v_mul_u32_u24_e32 v31, 0x21c, v57
	v_add_f16_e32 v19, v19, v101
	v_fma_f16 v54, v53, s4, v51
	v_fma_f16 v51, v53, s5, v51
	v_add_f16_e32 v53, v102, v98
	v_add3_u32 v21, 0, v31, v21
	v_add_f16_e32 v19, v19, v97
	v_fma_f16 v53, v53, -0.5, v20
	v_sub_f16_e32 v55, v76, v77
	ds_write_b16 v21, v19
	ds_write_b16 v21, v54 offset:180
	ds_write_b16 v21, v51 offset:360
	v_add_f16_e32 v19, v20, v102
	v_fma_f16 v56, v55, s4, v53
	v_fma_f16 v53, v55, s5, v53
	v_add_f16_e32 v19, v19, v98
	v_lshl_add_u32 v20, v90, 1, 0
	ds_write_b16 v20, v19 offset:4320
	ds_write_b16 v20, v56 offset:4500
	;; [unrolled: 1-line block ×3, first 2 shown]
	s_waitcnt lgkmcnt(0)
	s_barrier
	ds_read_u16 v51, v1 offset:3564
	ds_read_u16 v49, v1 offset:3726
	;; [unrolled: 1-line block ×6, first 2 shown]
	ds_read_u16 v40, v1
	ds_read_u16 v39, v1 offset:162
	ds_read_u16 v38, v1 offset:324
	;; [unrolled: 1-line block ×23, first 2 shown]
	s_waitcnt lgkmcnt(0)
	s_barrier
	ds_write_b16 v1, v108
	ds_write_b16 v1, v86 offset:180
	ds_write_b16 v1, v11 offset:360
	ds_write_b16 v8, v99
	ds_write_b16 v8, v109 offset:180
	ds_write_b16 v8, v15 offset:360
	v_add_f16_e32 v8, v65, v13
	v_add_f16_e32 v11, v13, v14
	;; [unrolled: 1-line block ×3, first 2 shown]
	v_fma_f16 v11, v11, -0.5, v65
	v_sub_f16_e32 v13, v78, v79
	v_fma_f16 v14, v13, s5, v11
	v_fma_f16 v11, v13, s4, v11
	ds_write_b16 v12, v8
	ds_write_b16 v12, v14 offset:180
	ds_write_b16 v12, v11 offset:360
	v_add_f16_e32 v8, v103, v9
	v_add_f16_e32 v9, v9, v10
	;; [unrolled: 1-line block ×3, first 2 shown]
	v_fma_f16 v9, v9, -0.5, v103
	v_sub_f16_e32 v10, v91, v80
	v_fma_f16 v11, v10, s5, v9
	v_fma_f16 v9, v10, s4, v9
	ds_write_b16 v16, v8
	ds_write_b16 v16, v11 offset:180
	ds_write_b16 v16, v9 offset:360
	v_add_f16_e32 v9, v66, v67
	v_add_f16_e32 v8, v104, v66
	v_fma_f16 v9, v9, -0.5, v104
	v_sub_f16_e32 v10, v92, v81
	v_add_f16_e32 v8, v8, v67
	v_fma_f16 v11, v10, s5, v9
	v_fma_f16 v9, v10, s4, v9
	ds_write_b16 v18, v8
	ds_write_b16 v18, v11 offset:180
	ds_write_b16 v18, v9 offset:360
	v_add_f16_e32 v9, v68, v69
	v_add_f16_e32 v8, v105, v68
	v_fma_f16 v9, v9, -0.5, v105
	v_sub_f16_e32 v10, v93, v82
	v_add_f16_e32 v8, v8, v69
	;; [unrolled: 10-line block ×3, first 2 shown]
	v_fma_f16 v11, v10, s5, v9
	v_fma_f16 v9, v10, s4, v9
	ds_write_b16 v62, v8
	ds_write_b16 v62, v11 offset:180
	ds_write_b16 v62, v9 offset:360
	v_add_f16_e32 v9, v72, v73
	v_add_f16_e32 v12, v74, v75
	;; [unrolled: 1-line block ×3, first 2 shown]
	v_fma_f16 v9, v9, -0.5, v107
	v_sub_f16_e32 v10, v100, v96
	v_fma_f16 v12, v12, -0.5, v110
	v_sub_f16_e32 v13, v101, v97
	v_add_f16_e32 v15, v76, v77
	v_add_f16_e32 v8, v8, v73
	v_fma_f16 v11, v10, s5, v9
	v_fma_f16 v9, v10, s4, v9
	v_add_f16_e32 v10, v110, v74
	v_fma_f16 v14, v13, s5, v12
	v_fma_f16 v12, v13, s4, v12
	v_add_f16_e32 v13, v83, v76
	v_fma_f16 v15, v15, -0.5, v83
	v_sub_f16_e32 v16, v102, v98
	v_add_f16_e32 v10, v10, v75
	v_add_f16_e32 v13, v13, v77
	v_fma_f16 v18, v16, s5, v15
	v_fma_f16 v15, v16, s4, v15
	ds_write_b16 v63, v8
	ds_write_b16 v63, v11 offset:180
	ds_write_b16 v63, v9 offset:360
	ds_write_b16 v21, v10
	ds_write_b16 v21, v14 offset:180
	ds_write_b16 v21, v12 offset:360
	ds_write_b16 v20, v13 offset:4320
	ds_write_b16 v20, v18 offset:4500
	ds_write_b16 v20, v15 offset:4680
	s_waitcnt lgkmcnt(0)
	s_barrier
	global_load_dwordx2 v[20:21], v[6:7], off offset:1040
	v_lshlrev_b32_e32 v8, 1, v17
	v_mov_b32_e32 v9, v5
	v_lshlrev_b64 v[8:9], 2, v[8:9]
	v_lshlrev_b32_e32 v10, 1, v29
	v_mov_b32_e32 v11, v5
	v_add_co_u32_e64 v8, s[0:1], s8, v8
	v_lshlrev_b64 v[10:11], 2, v[10:11]
	v_addc_co_u32_e64 v9, s[0:1], v30, v9, s[0:1]
	global_load_dwordx2 v[18:19], v[8:9], off offset:1040
	v_add_co_u32_e64 v10, s[0:1], s8, v10
	v_addc_co_u32_e64 v11, s[0:1], v30, v11, s[0:1]
	global_load_dwordx2 v[14:15], v[10:11], off offset:1040
	v_subrev_u32_e32 v12, 27, v0
	v_cmp_gt_u32_e64 s[0:1], 27, v0
	v_cndmask_b32_e64 v12, v12, v24, s[0:1]
	v_lshlrev_b32_e32 v12, 1, v12
	v_mov_b32_e32 v13, v5
	v_lshlrev_b64 v[16:17], 2, v[12:13]
	v_add_u32_e32 v61, 0x6c, v4
	v_add_co_u32_e64 v16, s[0:1], s8, v16
	v_addc_co_u32_e64 v17, s[0:1], v30, v17, s[0:1]
	global_load_dwordx2 v[16:17], v[16:17], off offset:1040
	v_mov_b32_e32 v62, v5
	v_lshlrev_b64 v[61:62], 2, v[61:62]
	v_add_u32_e32 v63, 0x10e, v4
	v_add_co_u32_e64 v61, s[0:1], s8, v61
	v_mov_b32_e32 v64, v5
	v_addc_co_u32_e64 v62, s[0:1], v30, v62, s[0:1]
	v_lshlrev_b64 v[63:64], 2, v[63:64]
	global_load_dwordx2 v[61:62], v[61:62], off offset:1040
	v_add_co_u32_e64 v63, s[0:1], s8, v63
	v_addc_co_u32_e64 v64, s[0:1], v30, v64, s[0:1]
	global_load_dwordx2 v[63:64], v[63:64], off offset:1040
	s_movk_i32 s0, 0x795d
	v_mul_u32_u24_sdwa v13, v22, s0 dst_sel:DWORD dst_unused:UNUSED_PAD src0_sel:WORD_0 src1_sel:DWORD
	v_mul_u32_u24_sdwa v30, v28, s0 dst_sel:DWORD dst_unused:UNUSED_PAD src0_sel:WORD_0 src1_sel:DWORD
	v_lshrrev_b32_e32 v13, 23, v13
	v_lshrrev_b32_e32 v30, 23, v30
	v_mul_lo_u16_e32 v29, 0x10e, v13
	v_mul_lo_u16_e32 v30, 0x10e, v30
	v_sub_u16_e32 v29, v22, v29
	v_sub_u16_e32 v30, v28, v30
	v_lshlrev_b32_e32 v69, 3, v29
	v_lshlrev_b32_e32 v70, 3, v30
	global_load_dwordx2 v[65:66], v69, s[8:9] offset:1040
	global_load_dwordx2 v[67:68], v70, s[8:9] offset:1040
	ds_read_u16 v69, v1 offset:1620
	ds_read_u16 v73, v1 offset:1782
	;; [unrolled: 1-line block ×7, first 2 shown]
	v_mul_u32_u24_sdwa v71, v26, s0 dst_sel:DWORD dst_unused:UNUSED_PAD src0_sel:WORD_0 src1_sel:DWORD
	v_lshrrev_b32_e32 v71, 23, v71
	v_mul_lo_u16_e32 v71, 0x10e, v71
	v_sub_u16_e32 v80, v26, v71
	v_lshlrev_b32_e32 v71, 3, v80
	global_load_dwordx2 v[71:72], v71, s[8:9] offset:1040
	v_add_u32_e32 v4, 0, v4
	v_mul_u32_u24_e32 v13, 0x654, v13
	v_lshl_add_u32 v98, v30, 1, 0
	v_lshl_add_u32 v80, v80, 1, 0
	s_waitcnt vmcnt(8) lgkmcnt(6)
	v_mul_f16_sdwa v70, v69, v20 dst_sel:DWORD dst_unused:UNUSED_PAD src0_sel:DWORD src1_sel:WORD_1
	v_fma_f16 v79, v60, v20, v70
	v_mul_f16_sdwa v60, v60, v20 dst_sel:DWORD dst_unused:UNUSED_PAD src0_sel:DWORD src1_sel:WORD_1
	v_fma_f16 v20, v69, v20, -v60
	v_mul_u32_u24_sdwa v60, v27, s0 dst_sel:DWORD dst_unused:UNUSED_PAD src0_sel:WORD_0 src1_sel:DWORD
	v_lshrrev_b32_e32 v60, 23, v60
	v_mul_lo_u16_e32 v60, 0x10e, v60
	v_sub_u16_e32 v60, v27, v60
	v_lshlrev_b32_e32 v69, 3, v60
	global_load_dwordx2 v[69:70], v69, s[8:9] offset:1040
	ds_read_u16 v81, v1 offset:3240
	ds_read_u16 v82, v1 offset:3402
	;; [unrolled: 1-line block ×8, first 2 shown]
	s_waitcnt lgkmcnt(7)
	v_mul_f16_sdwa v89, v81, v21 dst_sel:DWORD dst_unused:UNUSED_PAD src0_sel:DWORD src1_sel:WORD_1
	v_fma_f16 v89, v59, v21, v89
	v_mul_f16_sdwa v59, v59, v21 dst_sel:DWORD dst_unused:UNUSED_PAD src0_sel:DWORD src1_sel:WORD_1
	v_fma_f16 v21, v81, v21, -v59
	s_waitcnt vmcnt(8)
	v_mul_f16_sdwa v59, v73, v18 dst_sel:DWORD dst_unused:UNUSED_PAD src0_sel:DWORD src1_sel:WORD_1
	v_fma_f16 v59, v57, v18, v59
	v_mul_f16_sdwa v57, v57, v18 dst_sel:DWORD dst_unused:UNUSED_PAD src0_sel:DWORD src1_sel:WORD_1
	v_fma_f16 v18, v73, v18, -v57
	s_waitcnt lgkmcnt(6)
	v_mul_f16_sdwa v57, v82, v19 dst_sel:DWORD dst_unused:UNUSED_PAD src0_sel:DWORD src1_sel:WORD_1
	v_fma_f16 v57, v58, v19, v57
	v_mul_f16_sdwa v58, v58, v19 dst_sel:DWORD dst_unused:UNUSED_PAD src0_sel:DWORD src1_sel:WORD_1
	v_fma_f16 v19, v82, v19, -v58
	s_waitcnt vmcnt(7)
	v_mul_f16_sdwa v58, v74, v14 dst_sel:DWORD dst_unused:UNUSED_PAD src0_sel:DWORD src1_sel:WORD_1
	v_fma_f16 v58, v55, v14, v58
	v_mul_f16_sdwa v55, v55, v14 dst_sel:DWORD dst_unused:UNUSED_PAD src0_sel:DWORD src1_sel:WORD_1
	v_fma_f16 v14, v74, v14, -v55
	;; [unrolled: 10-line block ×4, first 2 shown]
	ds_read_u16 v61, v1 offset:3888
	ds_read_u16 v73, v1 offset:4050
	;; [unrolled: 1-line block ×6, first 2 shown]
	s_waitcnt lgkmcnt(5)
	v_mul_f16_sdwa v82, v61, v62 dst_sel:DWORD dst_unused:UNUSED_PAD src0_sel:DWORD src1_sel:WORD_1
	v_fma_f16 v82, v56, v62, v82
	v_mul_f16_sdwa v56, v56, v62 dst_sel:DWORD dst_unused:UNUSED_PAD src0_sel:DWORD src1_sel:WORD_1
	v_fma_f16 v56, v61, v62, -v56
	s_waitcnt vmcnt(4)
	v_mul_f16_sdwa v61, v77, v63 dst_sel:DWORD dst_unused:UNUSED_PAD src0_sel:DWORD src1_sel:WORD_1
	v_fma_f16 v61, v44, v63, v61
	v_mul_f16_sdwa v44, v44, v63 dst_sel:DWORD dst_unused:UNUSED_PAD src0_sel:DWORD src1_sel:WORD_1
	v_fma_f16 v62, v77, v63, -v44
	s_waitcnt lgkmcnt(4)
	v_mul_f16_sdwa v44, v73, v64 dst_sel:DWORD dst_unused:UNUSED_PAD src0_sel:DWORD src1_sel:WORD_1
	v_fma_f16 v63, v54, v64, v44
	v_mul_f16_sdwa v44, v54, v64 dst_sel:DWORD dst_unused:UNUSED_PAD src0_sel:DWORD src1_sel:WORD_1
	v_fma_f16 v54, v73, v64, -v44
	s_waitcnt vmcnt(3)
	v_mul_f16_sdwa v44, v85, v65 dst_sel:DWORD dst_unused:UNUSED_PAD src0_sel:DWORD src1_sel:WORD_1
	v_fma_f16 v64, v47, v65, v44
	v_mul_f16_sdwa v44, v47, v65 dst_sel:DWORD dst_unused:UNUSED_PAD src0_sel:DWORD src1_sel:WORD_1
	v_fma_f16 v65, v85, v65, -v44
	;; [unrolled: 10-line block ×3, first 2 shown]
	s_waitcnt lgkmcnt(2)
	v_mul_f16_sdwa v44, v75, v68 dst_sel:DWORD dst_unused:UNUSED_PAD src0_sel:DWORD src1_sel:WORD_1
	v_fma_f16 v74, v48, v68, v44
	v_mul_f16_sdwa v44, v48, v68 dst_sel:DWORD dst_unused:UNUSED_PAD src0_sel:DWORD src1_sel:WORD_1
	v_fma_f16 v68, v75, v68, -v44
	v_cmp_lt_u32_e64 s[0:1], 26, v0
	v_sub_f16_e32 v47, v67, v68
	v_lshl_add_u32 v60, v60, 1, 0
	s_waitcnt vmcnt(0)
	v_mul_f16_sdwa v44, v87, v69 dst_sel:DWORD dst_unused:UNUSED_PAD src0_sel:DWORD src1_sel:WORD_1
	v_fma_f16 v75, v42, v69, v44
	v_mul_f16_sdwa v42, v42, v69 dst_sel:DWORD dst_unused:UNUSED_PAD src0_sel:DWORD src1_sel:WORD_1
	v_fma_f16 v69, v87, v69, -v42
	s_waitcnt lgkmcnt(1)
	v_mul_f16_sdwa v42, v76, v70 dst_sel:DWORD dst_unused:UNUSED_PAD src0_sel:DWORD src1_sel:WORD_1
	v_fma_f16 v77, v46, v70, v42
	v_mul_f16_sdwa v42, v46, v70 dst_sel:DWORD dst_unused:UNUSED_PAD src0_sel:DWORD src1_sel:WORD_1
	v_fma_f16 v70, v76, v70, -v42
	v_mul_f16_sdwa v42, v88, v71 dst_sel:DWORD dst_unused:UNUSED_PAD src0_sel:DWORD src1_sel:WORD_1
	v_fma_f16 v76, v41, v71, v42
	v_mul_f16_sdwa v41, v41, v71 dst_sel:DWORD dst_unused:UNUSED_PAD src0_sel:DWORD src1_sel:WORD_1
	v_fma_f16 v71, v88, v71, -v41
	s_waitcnt lgkmcnt(0)
	v_mul_f16_sdwa v41, v81, v72 dst_sel:DWORD dst_unused:UNUSED_PAD src0_sel:DWORD src1_sel:WORD_1
	v_fma_f16 v83, v43, v72, v41
	v_mul_f16_sdwa v41, v43, v72 dst_sel:DWORD dst_unused:UNUSED_PAD src0_sel:DWORD src1_sel:WORD_1
	v_fma_f16 v72, v81, v72, -v41
	v_mov_b32_e32 v41, 0x654
	v_cndmask_b32_e64 v41, 0, v41, s[0:1]
	v_add3_u32 v81, 0, v41, v12
	v_add_f16_e32 v12, v79, v89
	v_fma_f16 v12, v12, -0.5, v40
	v_sub_f16_e32 v41, v20, v21
	v_fma_f16 v42, v41, s4, v12
	v_fma_f16 v12, v41, s5, v12
	ds_read_u16 v41, v1
	ds_read_u16 v43, v1 offset:162
	ds_read_u16 v44, v1 offset:324
	;; [unrolled: 1-line block ×7, first 2 shown]
	s_waitcnt lgkmcnt(7)
	v_add_f16_e32 v46, v41, v20
	v_add_f16_e32 v20, v20, v21
	v_add_f16_e32 v88, v46, v21
	v_fma_f16 v20, v20, -0.5, v41
	v_add_f16_e32 v21, v40, v79
	v_sub_f16_e32 v40, v79, v89
	v_add_f16_e32 v21, v21, v89
	v_fma_f16 v79, v40, s5, v20
	v_fma_f16 v89, v40, s4, v20
	v_add_f16_e32 v20, v59, v57
	v_fma_f16 v20, v20, -0.5, v39
	v_sub_f16_e32 v40, v18, v19
	v_fma_f16 v41, v40, s4, v20
	v_fma_f16 v20, v40, s5, v20
	s_waitcnt lgkmcnt(6)
	v_add_f16_e32 v40, v43, v18
	v_add_f16_e32 v18, v18, v19
	v_add_f16_e32 v90, v40, v19
	v_fma_f16 v18, v18, -0.5, v43
	v_add_f16_e32 v19, v39, v59
	v_sub_f16_e32 v39, v59, v57
	v_add_f16_e32 v19, v19, v57
	v_fma_f16 v57, v39, s5, v18
	v_fma_f16 v59, v39, s4, v18
	v_add_f16_e32 v18, v58, v55
	v_fma_f16 v18, v18, -0.5, v38
	v_sub_f16_e32 v39, v14, v15
	v_fma_f16 v40, v39, s4, v18
	v_fma_f16 v18, v39, s5, v18
	;; [unrolled: 15-line block ×4, first 2 shown]
	v_add_f16_e32 v37, v61, v63
	v_fma_f16 v37, v37, -0.5, v35
	v_sub_f16_e32 v43, v62, v54
	v_fma_f16 v44, v43, s4, v37
	v_fma_f16 v37, v43, s5, v37
	v_add_f16_e32 v43, v64, v73
	v_fma_f16 v43, v43, -0.5, v34
	v_sub_f16_e32 v45, v65, v52
	v_fma_f16 v46, v45, s4, v43
	v_fma_f16 v43, v45, s5, v43
	v_add_f16_e32 v45, v66, v74
	v_fma_f16 v45, v45, -0.5, v33
	v_fma_f16 v48, v47, s4, v45
	v_fma_f16 v45, v47, s5, v45
	v_add_f16_e32 v47, v75, v77
	v_fma_f16 v47, v47, -0.5, v31
	v_sub_f16_e32 v93, v69, v70
	v_fma_f16 v94, v93, s4, v47
	v_fma_f16 v47, v93, s5, v47
	v_add_f16_e32 v93, v76, v83
	v_fma_f16 v93, v93, -0.5, v32
	v_sub_f16_e32 v95, v71, v72
	v_fma_f16 v96, v95, s4, v93
	v_fma_f16 v93, v95, s5, v93
	ds_read_u16 v95, v1 offset:1296
	s_waitcnt lgkmcnt(0)
	s_barrier
	ds_write_b16 v1, v21
	ds_write_b16 v1, v42 offset:540
	ds_write_b16 v1, v12 offset:1080
	;; [unrolled: 1-line block ×8, first 2 shown]
	ds_write_b16 v81, v17
	ds_write_b16 v81, v39 offset:540
	ds_write_b16 v81, v14 offset:1080
	v_add_f16_e32 v12, v36, v49
	v_add_f16_e32 v12, v12, v82
	ds_write_b16 v4, v12 offset:1728
	ds_write_b16 v4, v38 offset:2268
	;; [unrolled: 1-line block ×3, first 2 shown]
	v_add_f16_e32 v12, v35, v61
	v_add_f16_e32 v12, v12, v63
	ds_write_b16 v4, v12 offset:1890
	ds_write_b16 v4, v44 offset:2430
	;; [unrolled: 1-line block ×3, first 2 shown]
	v_lshlrev_b32_e32 v12, 1, v29
	v_add3_u32 v97, 0, v13, v12
	v_add_f16_e32 v12, v34, v64
	v_add_f16_e32 v12, v12, v73
	ds_write_b16 v97, v12
	ds_write_b16 v97, v46 offset:540
	ds_write_b16 v97, v43 offset:1080
	v_add_f16_e32 v12, v33, v66
	v_add_f16_e32 v12, v12, v74
	ds_write_b16 v98, v12 offset:3240
	ds_write_b16 v98, v48 offset:3780
	ds_write_b16 v98, v45 offset:4320
	v_add_f16_e32 v12, v31, v75
	v_add_f16_e32 v12, v12, v77
	ds_write_b16 v60, v12 offset:3240
	;; [unrolled: 5-line block ×3, first 2 shown]
	ds_write_b16 v80, v96 offset:3780
	ds_write_b16 v80, v93 offset:4320
	s_waitcnt lgkmcnt(0)
	s_barrier
	ds_read_u16 v16, v1 offset:3564
	ds_read_u16 v21, v1 offset:3726
	;; [unrolled: 1-line block ×6, first 2 shown]
	ds_read_u16 v12, v1
	ds_read_u16 v13, v1 offset:162
	ds_read_u16 v17, v1 offset:324
	;; [unrolled: 1-line block ×23, first 2 shown]
	s_waitcnt lgkmcnt(0)
	s_barrier
	ds_write_b16 v1, v88
	ds_write_b16 v1, v79 offset:540
	ds_write_b16 v1, v89 offset:1080
	;; [unrolled: 1-line block ×8, first 2 shown]
	ds_write_b16 v81, v92
	ds_write_b16 v81, v51 offset:540
	ds_write_b16 v81, v53 offset:1080
	v_add_f16_e32 v51, v84, v50
	v_add_f16_e32 v50, v50, v56
	v_fma_f16 v50, v50, -0.5, v84
	v_sub_f16_e32 v49, v49, v82
	v_fma_f16 v53, v49, s5, v50
	v_fma_f16 v49, v49, s4, v50
	v_add_f16_e32 v50, v85, v62
	v_add_f16_e32 v50, v50, v54
	;; [unrolled: 1-line block ×4, first 2 shown]
	v_fma_f16 v54, v54, -0.5, v85
	v_sub_f16_e32 v55, v61, v63
	v_fma_f16 v56, v55, s5, v54
	v_fma_f16 v54, v55, s4, v54
	ds_write_b16 v4, v51 offset:1728
	ds_write_b16 v4, v53 offset:2268
	;; [unrolled: 1-line block ×6, first 2 shown]
	v_add_f16_e32 v49, v65, v52
	v_add_f16_e32 v4, v86, v65
	v_fma_f16 v49, v49, -0.5, v86
	v_sub_f16_e32 v50, v64, v73
	v_add_f16_e32 v4, v4, v52
	v_fma_f16 v51, v50, s5, v49
	v_fma_f16 v49, v50, s4, v49
	ds_write_b16 v97, v4
	ds_write_b16 v97, v51 offset:540
	ds_write_b16 v97, v49 offset:1080
	v_add_f16_e32 v49, v67, v68
	v_add_f16_e32 v52, v69, v70
	v_add_f16_e32 v4, v87, v67
	v_fma_f16 v49, v49, -0.5, v87
	v_sub_f16_e32 v50, v66, v74
	v_fma_f16 v52, v52, -0.5, v95
	v_sub_f16_e32 v53, v75, v77
	v_add_f16_e32 v55, v71, v72
	v_add_f16_e32 v4, v4, v68
	v_fma_f16 v51, v50, s5, v49
	v_fma_f16 v49, v50, s4, v49
	v_add_f16_e32 v50, v95, v69
	v_fma_f16 v54, v53, s5, v52
	v_fma_f16 v52, v53, s4, v52
	v_add_f16_e32 v53, v78, v71
	v_fma_f16 v55, v55, -0.5, v78
	v_sub_f16_e32 v56, v76, v83
	s_movk_i32 s0, 0x654
	v_add_f16_e32 v50, v50, v70
	v_add_f16_e32 v53, v53, v72
	v_fma_f16 v57, v56, s5, v55
	v_fma_f16 v55, v56, s4, v55
	ds_write_b16 v98, v4 offset:3240
	ds_write_b16 v98, v51 offset:3780
	;; [unrolled: 1-line block ×9, first 2 shown]
	s_waitcnt lgkmcnt(0)
	s_barrier
	s_and_saveexec_b64 s[6:7], vcc
	s_cbranch_execz .LBB0_13
; %bb.12:
	v_lshlrev_b32_e32 v4, 1, v26
	v_lshlrev_b64 v[49:50], 2, v[4:5]
	v_lshlrev_b32_e32 v4, 1, v27
	v_mov_b32_e32 v63, s9
	v_add_co_u32_e32 v49, vcc, s8, v49
	v_lshlrev_b64 v[51:52], 2, v[4:5]
	v_addc_co_u32_e32 v50, vcc, v63, v50, vcc
	v_add_co_u32_e32 v51, vcc, s8, v51
	global_load_dwordx2 v[49:50], v[49:50], off offset:3200
	v_addc_co_u32_e32 v52, vcc, v63, v52, vcc
	global_load_dwordx2 v[51:52], v[51:52], off offset:3200
	v_lshlrev_b32_e32 v4, 1, v28
	v_lshlrev_b64 v[53:54], 2, v[4:5]
	v_lshlrev_b32_e32 v4, 1, v22
	v_add_co_u32_e32 v53, vcc, s8, v53
	v_addc_co_u32_e32 v54, vcc, v63, v54, vcc
	global_load_dwordx2 v[53:54], v[53:54], off offset:3200
	v_lshlrev_b64 v[55:56], 2, v[4:5]
	v_lshlrev_b32_e32 v4, 1, v23
	v_lshlrev_b64 v[57:58], 2, v[4:5]
	v_add_co_u32_e32 v55, vcc, s8, v55
	v_addc_co_u32_e32 v56, vcc, v63, v56, vcc
	v_add_co_u32_e32 v57, vcc, s8, v57
	ds_read_u16 v28, v1 offset:3078
	ds_read_u16 v64, v1 offset:2430
	;; [unrolled: 1-line block ×16, first 2 shown]
	global_load_dwordx2 v[10:11], v[10:11], off offset:3200
	v_addc_co_u32_e32 v58, vcc, v63, v58, vcc
	global_load_dwordx2 v[59:60], v[55:56], off offset:3200
	global_load_dwordx2 v[61:62], v[57:58], off offset:3200
	ds_read_u16 v56, v1 offset:2916
	s_movk_i32 s1, 0x1000
	global_load_dwordx2 v[8:9], v[8:9], off offset:3200
	s_waitcnt vmcnt(6)
	v_mul_f16_sdwa v4, v47, v49 dst_sel:DWORD dst_unused:UNUSED_PAD src0_sel:DWORD src1_sel:WORD_1
	global_load_dwordx2 v[6:7], v[6:7], off offset:3200
	v_mul_f16_sdwa v55, v48, v50 dst_sel:DWORD dst_unused:UNUSED_PAD src0_sel:DWORD src1_sel:WORD_1
	s_waitcnt lgkmcnt(14)
	v_mul_f16_sdwa v57, v28, v49 dst_sel:DWORD dst_unused:UNUSED_PAD src0_sel:DWORD src1_sel:WORD_1
	s_waitcnt lgkmcnt(7)
	v_mul_f16_sdwa v58, v72, v50 dst_sel:DWORD dst_unused:UNUSED_PAD src0_sel:DWORD src1_sel:WORD_1
	v_fma_f16 v4, v49, v28, -v4
	v_fma_f16 v28, v50, v72, -v55
	v_fma_f16 v47, v47, v49, v57
	v_fma_f16 v48, v48, v50, v58
	s_waitcnt vmcnt(6)
	v_mul_f16_sdwa v49, v44, v51 dst_sel:DWORD dst_unused:UNUSED_PAD src0_sel:DWORD src1_sel:WORD_1
	v_mul_f16_sdwa v50, v46, v52 dst_sel:DWORD dst_unused:UNUSED_PAD src0_sel:DWORD src1_sel:WORD_1
	s_waitcnt lgkmcnt(6)
	v_mul_f16_sdwa v58, v73, v52 dst_sel:DWORD dst_unused:UNUSED_PAD src0_sel:DWORD src1_sel:WORD_1
	v_sub_f16_e32 v79, v47, v48
	v_add_f16_e32 v81, v47, v48
	v_add_f16_e32 v47, v45, v47
	v_fma_f16 v50, v52, v73, -v50
	ds_read_u16 v73, v1 offset:4212
	ds_read_u16 v55, v1 offset:2754
	s_waitcnt lgkmcnt(2)
	v_mul_f16_sdwa v57, v56, v51 dst_sel:DWORD dst_unused:UNUSED_PAD src0_sel:DWORD src1_sel:WORD_1
	v_fma_f16 v49, v51, v56, -v49
	v_add_f16_e32 v72, v4, v28
	v_add_f16_e32 v80, v70, v4
	v_sub_f16_e32 v4, v4, v28
	v_fma_f16 v44, v44, v51, v57
	v_fma_f16 v46, v46, v52, v58
	v_fma_f16 v45, v81, -0.5, v45
	v_add_f16_e32 v47, v47, v48
	v_add_f16_e32 v48, v49, v50
	v_sub_f16_e32 v52, v44, v46
	v_fma_f16 v57, v4, s5, v45
	v_fma_f16 v45, v4, s4, v45
	v_fma_f16 v4, v48, -0.5, v71
	v_fma_f16 v48, v52, s4, v4
	v_fma_f16 v52, v52, s5, v4
	v_add_f16_e32 v4, v71, v49
	v_add_f16_e32 v58, v4, v50
	;; [unrolled: 1-line block ×3, first 2 shown]
	v_fma_f16 v4, v4, -0.5, v43
	v_sub_f16_e32 v49, v49, v50
	v_fma_f16 v51, v72, -0.5, v70
	v_fma_f16 v50, v49, s5, v4
	v_fma_f16 v49, v49, s4, v4
	v_add_f16_e32 v4, v43, v44
	ds_read_u16 v70, v1 offset:1134
	ds_read_u16 v72, v1 offset:2592
	v_add_f16_e32 v46, v4, v46
	v_lshlrev_b32_e32 v4, 1, v25
	s_waitcnt vmcnt(5)
	v_mul_f16_sdwa v71, v41, v53 dst_sel:DWORD dst_unused:UNUSED_PAD src0_sel:DWORD src1_sel:WORD_1
	v_lshlrev_b64 v[43:44], 2, v[4:5]
	v_mul_f16_sdwa v4, v42, v54 dst_sel:DWORD dst_unused:UNUSED_PAD src0_sel:DWORD src1_sel:WORD_1
	s_waitcnt lgkmcnt(2)
	v_mul_f16_sdwa v25, v55, v53 dst_sel:DWORD dst_unused:UNUSED_PAD src0_sel:DWORD src1_sel:WORD_1
	v_fma_f16 v56, v79, s4, v51
	v_fma_f16 v51, v79, s5, v51
	v_fma_f16 v71, v53, v55, -v71
	v_fma_f16 v79, v54, v74, -v4
	v_fma_f16 v41, v41, v53, v25
	v_mul_f16_sdwa v25, v74, v54 dst_sel:DWORD dst_unused:UNUSED_PAD src0_sel:DWORD src1_sel:WORD_1
	v_add_f16_e32 v4, v71, v79
	v_fma_f16 v42, v42, v54, v25
	v_add_f16_e32 v28, v80, v28
	ds_read_u16 v80, v1 offset:972
	ds_read_u16 v74, v1 offset:810
	s_waitcnt lgkmcnt(3)
	v_fma_f16 v4, v4, -0.5, v70
	v_sub_f16_e32 v25, v41, v42
	v_add_co_u32_e32 v43, vcc, s8, v43
	v_fma_f16 v53, v25, s4, v4
	v_fma_f16 v54, v25, s5, v4
	v_add_f16_e32 v4, v70, v71
	v_addc_co_u32_e32 v44, vcc, v63, v44, vcc
	v_add_f16_e32 v55, v4, v79
	v_lshlrev_b32_e32 v4, 1, v24
	global_load_dwordx2 v[43:44], v[43:44], off offset:3200
	v_lshlrev_b64 v[24:25], 2, v[4:5]
	v_add_f16_e32 v70, v41, v42
	v_add_co_u32_e32 v24, vcc, s8, v24
	v_addc_co_u32_e32 v25, vcc, v63, v25, vcc
	global_load_dwordx2 v[24:25], v[24:25], off offset:3200
	v_fma_f16 v4, v70, -0.5, v39
	v_sub_f16_e32 v63, v71, v79
	v_fma_f16 v70, v63, s5, v4
	v_fma_f16 v63, v63, s4, v4
	v_add_f16_e32 v4, v39, v41
	v_add_f16_e32 v39, v4, v42
	s_waitcnt vmcnt(5)
	v_mul_f16_sdwa v4, v38, v59 dst_sel:DWORD dst_unused:UNUSED_PAD src0_sel:DWORD src1_sel:WORD_1
	s_waitcnt lgkmcnt(2)
	v_fma_f16 v4, v59, v72, -v4
	v_mul_f16_sdwa v41, v40, v60 dst_sel:DWORD dst_unused:UNUSED_PAD src0_sel:DWORD src1_sel:WORD_1
	v_mul_f16_sdwa v72, v72, v59 dst_sel:DWORD dst_unused:UNUSED_PAD src0_sel:DWORD src1_sel:WORD_1
	v_fma_f16 v41, v60, v73, -v41
	v_fma_f16 v38, v38, v59, v72
	v_mul_f16_sdwa v59, v73, v60 dst_sel:DWORD dst_unused:UNUSED_PAD src0_sel:DWORD src1_sel:WORD_1
	ds_read_u16 v42, v1 offset:4050
	v_add_f16_e32 v71, v4, v41
	v_fma_f16 v40, v40, v60, v59
	s_waitcnt lgkmcnt(2)
	v_fma_f16 v71, v71, -0.5, v80
	v_sub_f16_e32 v59, v38, v40
	v_add_f16_e32 v72, v38, v40
	v_fma_f16 v60, v59, s4, v71
	v_fma_f16 v59, v59, s5, v71
	v_add_f16_e32 v71, v80, v4
	v_fma_f16 v72, v72, -0.5, v36
	v_sub_f16_e32 v4, v4, v41
	v_add_f16_e32 v71, v71, v41
	v_fma_f16 v41, v4, s5, v72
	v_fma_f16 v72, v4, s4, v72
	v_add_f16_e32 v4, v36, v38
	v_add_f16_e32 v36, v4, v40
	ds_read_u16 v40, v1 offset:3888
	s_waitcnt vmcnt(4)
	v_mul_f16_sdwa v4, v35, v61 dst_sel:DWORD dst_unused:UNUSED_PAD src0_sel:DWORD src1_sel:WORD_1
	v_mul_f16_sdwa v38, v37, v62 dst_sel:DWORD dst_unused:UNUSED_PAD src0_sel:DWORD src1_sel:WORD_1
	v_fma_f16 v4, v61, v64, -v4
	s_waitcnt lgkmcnt(1)
	v_fma_f16 v38, v62, v42, -v38
	v_mul_f16_sdwa v64, v64, v61 dst_sel:DWORD dst_unused:UNUSED_PAD src0_sel:DWORD src1_sel:WORD_1
	v_mul_f16_sdwa v42, v42, v62 dst_sel:DWORD dst_unused:UNUSED_PAD src0_sel:DWORD src1_sel:WORD_1
	v_fma_f16 v35, v35, v61, v64
	v_fma_f16 v37, v37, v62, v42
	v_add_f16_e32 v64, v35, v37
	v_add_f16_e32 v73, v4, v38
	ds_read_u16 v79, v1 offset:648
	v_add_f16_e32 v62, v74, v4
	v_fma_f16 v64, v64, -0.5, v33
	v_sub_f16_e32 v4, v4, v38
	v_add_f16_e32 v62, v62, v38
	v_fma_f16 v38, v4, s5, v64
	v_fma_f16 v64, v4, s4, v64
	v_add_f16_e32 v4, v33, v35
	v_sub_f16_e32 v42, v35, v37
	v_add_f16_e32 v33, v4, v37
	v_fma_f16 v73, v73, -0.5, v74
	v_fma_f16 v61, v42, s4, v73
	v_fma_f16 v42, v42, s5, v73
	ds_read_u16 v73, v1 offset:486
	v_add_co_u32_e32 v2, vcc, s2, v2
	s_mov_b32 s2, 0x50e89cc3
	s_waitcnt vmcnt(1)
	v_mul_f16_sdwa v4, v32, v43 dst_sel:DWORD dst_unused:UNUSED_PAD src0_sel:DWORD src1_sel:WORD_1
	v_mul_f16_sdwa v35, v34, v44 dst_sel:DWORD dst_unused:UNUSED_PAD src0_sel:DWORD src1_sel:WORD_1
	v_fma_f16 v4, v43, v65, -v4
	s_waitcnt lgkmcnt(2)
	v_fma_f16 v35, v44, v40, -v35
	v_mul_f16_sdwa v65, v65, v43 dst_sel:DWORD dst_unused:UNUSED_PAD src0_sel:DWORD src1_sel:WORD_1
	v_mul_f16_sdwa v40, v40, v44 dst_sel:DWORD dst_unused:UNUSED_PAD src0_sel:DWORD src1_sel:WORD_1
	v_fma_f16 v32, v32, v43, v65
	ds_read_u16 v65, v1 offset:324
	v_fma_f16 v34, v34, v44, v40
	v_add_f16_e32 v44, v32, v34
	v_sub_f16_e32 v40, v32, v34
	v_fma_f16 v44, v44, -0.5, v31
	v_add_f16_e32 v31, v31, v32
	s_waitcnt vmcnt(0)
	v_mul_f16_sdwa v32, v30, v24 dst_sel:DWORD dst_unused:UNUSED_PAD src0_sel:DWORD src1_sel:WORD_1
	v_fma_f16 v32, v24, v66, -v32
	v_mul_f16_sdwa v66, v66, v24 dst_sel:DWORD dst_unused:UNUSED_PAD src0_sel:DWORD src1_sel:WORD_1
	v_add_f16_e32 v37, v4, v35
	v_fma_f16 v24, v30, v24, v66
	v_mul_f16_sdwa v30, v75, v25 dst_sel:DWORD dst_unused:UNUSED_PAD src0_sel:DWORD src1_sel:WORD_1
	s_waitcnt lgkmcnt(2)
	v_fma_f16 v37, v37, -0.5, v79
	v_add_f16_e32 v31, v31, v34
	v_mul_f16_sdwa v34, v21, v25 dst_sel:DWORD dst_unused:UNUSED_PAD src0_sel:DWORD src1_sel:WORD_1
	v_fma_f16 v21, v21, v25, v30
	v_fma_f16 v43, v40, s4, v37
	;; [unrolled: 1-line block ×3, first 2 shown]
	v_add_f16_e32 v40, v79, v4
	v_sub_f16_e32 v4, v4, v35
	v_fma_f16 v34, v25, v75, -v34
	v_sub_f16_e32 v25, v24, v21
	v_add_f16_e32 v66, v24, v21
	v_add_f16_e32 v24, v29, v24
	;; [unrolled: 1-line block ×3, first 2 shown]
	v_fma_f16 v35, v4, s5, v44
	v_fma_f16 v4, v4, s4, v44
	v_add_f16_e32 v44, v32, v34
	v_add_f16_e32 v21, v24, v21
	v_mul_f16_sdwa v24, v18, v10 dst_sel:DWORD dst_unused:UNUSED_PAD src0_sel:DWORD src1_sel:WORD_1
	s_waitcnt lgkmcnt(1)
	v_fma_f16 v44, v44, -0.5, v73
	v_fma_f16 v66, v66, -0.5, v29
	v_fma_f16 v24, v10, v67, -v24
	v_mul_f16_sdwa v29, v16, v11 dst_sel:DWORD dst_unused:UNUSED_PAD src0_sel:DWORD src1_sel:WORD_1
	v_mul_f16_sdwa v67, v67, v10 dst_sel:DWORD dst_unused:UNUSED_PAD src0_sel:DWORD src1_sel:WORD_1
	v_fma_f16 v30, v25, s4, v44
	v_fma_f16 v25, v25, s5, v44
	v_add_f16_e32 v44, v73, v32
	ds_read_u16 v73, v1 offset:162
	v_sub_f16_e32 v32, v32, v34
	v_fma_f16 v29, v11, v76, -v29
	v_fma_f16 v10, v18, v10, v67
	v_mul_f16_sdwa v18, v76, v11 dst_sel:DWORD dst_unused:UNUSED_PAD src0_sel:DWORD src1_sel:WORD_1
	v_add_f16_e32 v44, v44, v34
	v_fma_f16 v34, v32, s5, v66
	v_fma_f16 v32, v32, s4, v66
	v_add_f16_e32 v66, v24, v29
	v_fma_f16 v11, v16, v11, v18
	s_waitcnt lgkmcnt(1)
	v_fma_f16 v66, v66, -0.5, v65
	v_sub_f16_e32 v16, v10, v11
	v_fma_f16 v18, v16, s4, v66
	v_fma_f16 v16, v16, s5, v66
	v_add_f16_e32 v66, v10, v11
	v_add_f16_e32 v10, v17, v10
	;; [unrolled: 1-line block ×3, first 2 shown]
	v_mul_f16_sdwa v11, v19, v8 dst_sel:DWORD dst_unused:UNUSED_PAD src0_sel:DWORD src1_sel:WORD_1
	v_mul_f16_sdwa v67, v68, v8 dst_sel:DWORD dst_unused:UNUSED_PAD src0_sel:DWORD src1_sel:WORD_1
	v_fma_f16 v66, v66, -0.5, v17
	v_fma_f16 v11, v8, v68, -v11
	v_mul_f16_sdwa v17, v20, v9 dst_sel:DWORD dst_unused:UNUSED_PAD src0_sel:DWORD src1_sel:WORD_1
	v_fma_f16 v8, v19, v8, v67
	v_mul_f16_sdwa v19, v77, v9 dst_sel:DWORD dst_unused:UNUSED_PAD src0_sel:DWORD src1_sel:WORD_1
	v_add_f16_e32 v65, v65, v24
	v_sub_f16_e32 v24, v24, v29
	v_fma_f16 v17, v9, v77, -v17
	ds_read_u16 v1, v1
	v_fma_f16 v9, v20, v9, v19
	v_add_f16_e32 v65, v65, v29
	v_fma_f16 v29, v24, s5, v66
	v_fma_f16 v24, v24, s4, v66
	v_add_f16_e32 v66, v11, v17
	v_sub_f16_e32 v19, v8, v9
	v_add_f16_e32 v67, v8, v9
	v_add_f16_e32 v8, v13, v8
	s_waitcnt lgkmcnt(1)
	v_fma_f16 v66, v66, -0.5, v73
	v_fma_f16 v67, v67, -0.5, v13
	v_add_f16_e32 v8, v8, v9
	v_mul_f16_sdwa v9, v14, v6 dst_sel:DWORD dst_unused:UNUSED_PAD src0_sel:DWORD src1_sel:WORD_1
	v_mul_f16_sdwa v13, v15, v7 dst_sel:DWORD dst_unused:UNUSED_PAD src0_sel:DWORD src1_sel:WORD_1
	v_mul_f16_sdwa v68, v69, v6 dst_sel:DWORD dst_unused:UNUSED_PAD src0_sel:DWORD src1_sel:WORD_1
	v_fma_f16 v20, v19, s4, v66
	v_fma_f16 v19, v19, s5, v66
	v_add_f16_e32 v66, v73, v11
	v_sub_f16_e32 v11, v11, v17
	v_fma_f16 v9, v6, v69, -v9
	v_fma_f16 v13, v7, v78, -v13
	v_fma_f16 v6, v14, v6, v68
	v_mul_f16_sdwa v14, v78, v7 dst_sel:DWORD dst_unused:UNUSED_PAD src0_sel:DWORD src1_sel:WORD_1
	v_add_f16_e32 v66, v66, v17
	v_fma_f16 v17, v11, s5, v67
	v_fma_f16 v11, v11, s4, v67
	v_add_f16_e32 v67, v9, v13
	v_fma_f16 v7, v15, v7, v14
	s_waitcnt lgkmcnt(0)
	v_fma_f16 v67, v67, -0.5, v1
	v_sub_f16_e32 v14, v6, v7
	v_add_f16_e32 v1, v1, v9
	v_fma_f16 v15, v14, s4, v67
	v_fma_f16 v14, v14, s5, v67
	v_add_f16_e32 v67, v1, v13
	v_add_f16_e32 v1, v6, v7
	v_fma_f16 v1, v1, -0.5, v12
	v_sub_f16_e32 v9, v9, v13
	v_fma_f16 v13, v9, s5, v1
	v_fma_f16 v9, v9, s4, v1
	v_add_f16_e32 v1, v12, v6
	v_add_f16_e32 v6, v1, v7
	v_mov_b32_e32 v1, v5
	v_mov_b32_e32 v7, s3
	v_lshlrev_b64 v[0:1], 2, v[0:1]
	v_addc_co_u32_e32 v3, vcc, v7, v3, vcc
	v_add_co_u32_e32 v0, vcc, v2, v0
	v_addc_co_u32_e32 v1, vcc, v3, v1, vcc
	v_pack_b32_f16 v2, v6, v67
	global_store_dword v[0:1], v2, off
	v_pack_b32_f16 v2, v9, v14
	global_store_dword v[0:1], v2, off offset:3240
	v_add_co_u32_e32 v2, vcc, s1, v0
	v_pack_b32_f16 v6, v13, v15
	v_addc_co_u32_e32 v3, vcc, 0, v1, vcc
	global_store_dword v[2:3], v6, off offset:2384
	v_pack_b32_f16 v6, v8, v66
	global_store_dword v[0:1], v6, off offset:324
	v_pack_b32_f16 v6, v11, v19
	global_store_dword v[0:1], v6, off offset:3564
	v_pack_b32_f16 v6, v17, v20
	global_store_dword v[2:3], v6, off offset:2708
	v_pack_b32_f16 v6, v10, v65
	global_store_dword v[0:1], v6, off offset:648
	v_pack_b32_f16 v6, v24, v16
	global_store_dword v[0:1], v6, off offset:3888
	v_pack_b32_f16 v6, v29, v18
	global_store_dword v[2:3], v6, off offset:3032
	v_pack_b32_f16 v6, v21, v44
	global_store_dword v[0:1], v6, off offset:972
	v_pack_b32_f16 v6, v32, v25
	global_store_dword v[2:3], v6, off offset:116
	v_pack_b32_f16 v6, v34, v30
	global_store_dword v[2:3], v6, off offset:3356
	v_pack_b32_f16 v6, v31, v40
	global_store_dword v[0:1], v6, off offset:1296
	v_mul_hi_u32 v6, v23, s2
	v_pack_b32_f16 v4, v4, v37
	global_store_dword v[2:3], v4, off offset:440
	v_pack_b32_f16 v4, v35, v43
	global_store_dword v[2:3], v4, off offset:3680
	v_lshrrev_b32_e32 v4, 8, v6
	v_mul_u32_u24_e32 v4, 0x654, v4
	v_lshlrev_b64 v[6:7], 2, v[4:5]
	v_pack_b32_f16 v4, v33, v62
	v_add_co_u32_e32 v6, vcc, v0, v6
	v_addc_co_u32_e32 v7, vcc, v1, v7, vcc
	v_add_co_u32_e32 v8, vcc, s0, v6
	v_addc_co_u32_e32 v9, vcc, 0, v7, vcc
	global_store_dword v[6:7], v4, off offset:1620
	v_pack_b32_f16 v4, v64, v42
	global_store_dword v[8:9], v4, off offset:3240
	v_mul_hi_u32 v8, v22, s2
	v_add_co_u32_e32 v6, vcc, s1, v6
	v_pack_b32_f16 v4, v38, v61
	v_addc_co_u32_e32 v7, vcc, 0, v7, vcc
	global_store_dword v[6:7], v4, off offset:4004
	v_lshrrev_b32_e32 v4, 8, v8
	v_mul_u32_u24_e32 v4, 0x654, v4
	v_lshlrev_b64 v[6:7], 2, v[4:5]
	s_movk_i32 s0, 0x798
	v_add_co_u32_e32 v6, vcc, v0, v6
	v_addc_co_u32_e32 v7, vcc, v1, v7, vcc
	v_add_co_u32_e32 v8, vcc, s0, v6
	v_addc_co_u32_e32 v9, vcc, 0, v7, vcc
	v_pack_b32_f16 v4, v36, v71
	s_movk_i32 s0, 0x2000
	global_store_dword v[6:7], v4, off offset:1944
	v_pack_b32_f16 v4, v72, v59
	v_add_co_u32_e32 v6, vcc, s0, v6
	global_store_dword v[8:9], v4, off offset:3240
	v_pack_b32_f16 v4, v41, v60
	v_addc_co_u32_e32 v7, vcc, 0, v7, vcc
	global_store_dword v[6:7], v4, off offset:232
	v_pack_b32_f16 v4, v39, v55
	v_mul_hi_u32 v6, v27, s2
	global_store_dword v[0:1], v4, off offset:2268
	v_pack_b32_f16 v4, v63, v54
	global_store_dword v[2:3], v4, off offset:1412
	v_add_co_u32_e32 v2, vcc, s0, v0
	v_pack_b32_f16 v4, v70, v53
	v_addc_co_u32_e32 v3, vcc, 0, v1, vcc
	global_store_dword v[2:3], v4, off offset:556
	v_lshrrev_b32_e32 v2, 8, v6
	v_mul_u32_u24_e32 v4, 0x654, v2
	v_lshlrev_b64 v[2:3], 2, v[4:5]
	s_movk_i32 s1, 0xa20
	v_add_co_u32_e32 v2, vcc, v0, v2
	v_addc_co_u32_e32 v3, vcc, v1, v3, vcc
	v_add_co_u32_e32 v6, vcc, s1, v2
	v_pack_b32_f16 v4, v46, v58
	v_addc_co_u32_e32 v7, vcc, 0, v3, vcc
	global_store_dword v[2:3], v4, off offset:2592
	v_pack_b32_f16 v4, v49, v52
	global_store_dword v[6:7], v4, off offset:3240
	v_mul_hi_u32 v6, v26, s2
	v_add_co_u32_e32 v2, vcc, s0, v2
	v_pack_b32_f16 v4, v50, v48
	v_addc_co_u32_e32 v3, vcc, 0, v3, vcc
	global_store_dword v[2:3], v4, off offset:880
	v_lshrrev_b32_e32 v2, 8, v6
	v_mul_u32_u24_e32 v4, 0x654, v2
	v_lshlrev_b64 v[2:3], 2, v[4:5]
	v_pack_b32_f16 v4, v47, v28
	v_add_co_u32_e32 v0, vcc, v0, v2
	v_addc_co_u32_e32 v1, vcc, v1, v3, vcc
	v_add_co_u32_e32 v2, vcc, 0xb64, v0
	v_addc_co_u32_e32 v3, vcc, 0, v1, vcc
	global_store_dword v[0:1], v4, off offset:2916
	v_pack_b32_f16 v4, v45, v51
	v_add_co_u32_e32 v0, vcc, 0x2000, v0
	global_store_dword v[2:3], v4, off offset:3240
	v_pack_b32_f16 v2, v57, v56
	v_addc_co_u32_e32 v1, vcc, 0, v1, vcc
	global_store_dword v[0:1], v2, off offset:1204
.LBB0_13:
	s_endpgm
	.section	.rodata,"a",@progbits
	.p2align	6, 0x0
	.amdhsa_kernel fft_rtc_back_len2430_factors_10_3_3_3_3_3_wgs_81_tpt_81_halfLds_half_ip_CI_unitstride_sbrr_dirReg
		.amdhsa_group_segment_fixed_size 0
		.amdhsa_private_segment_fixed_size 0
		.amdhsa_kernarg_size 88
		.amdhsa_user_sgpr_count 6
		.amdhsa_user_sgpr_private_segment_buffer 1
		.amdhsa_user_sgpr_dispatch_ptr 0
		.amdhsa_user_sgpr_queue_ptr 0
		.amdhsa_user_sgpr_kernarg_segment_ptr 1
		.amdhsa_user_sgpr_dispatch_id 0
		.amdhsa_user_sgpr_flat_scratch_init 0
		.amdhsa_user_sgpr_private_segment_size 0
		.amdhsa_uses_dynamic_stack 0
		.amdhsa_system_sgpr_private_segment_wavefront_offset 0
		.amdhsa_system_sgpr_workgroup_id_x 1
		.amdhsa_system_sgpr_workgroup_id_y 0
		.amdhsa_system_sgpr_workgroup_id_z 0
		.amdhsa_system_sgpr_workgroup_info 0
		.amdhsa_system_vgpr_workitem_id 0
		.amdhsa_next_free_vgpr 117
		.amdhsa_next_free_sgpr 22
		.amdhsa_reserve_vcc 1
		.amdhsa_reserve_flat_scratch 0
		.amdhsa_float_round_mode_32 0
		.amdhsa_float_round_mode_16_64 0
		.amdhsa_float_denorm_mode_32 3
		.amdhsa_float_denorm_mode_16_64 3
		.amdhsa_dx10_clamp 1
		.amdhsa_ieee_mode 1
		.amdhsa_fp16_overflow 0
		.amdhsa_exception_fp_ieee_invalid_op 0
		.amdhsa_exception_fp_denorm_src 0
		.amdhsa_exception_fp_ieee_div_zero 0
		.amdhsa_exception_fp_ieee_overflow 0
		.amdhsa_exception_fp_ieee_underflow 0
		.amdhsa_exception_fp_ieee_inexact 0
		.amdhsa_exception_int_div_zero 0
	.end_amdhsa_kernel
	.text
.Lfunc_end0:
	.size	fft_rtc_back_len2430_factors_10_3_3_3_3_3_wgs_81_tpt_81_halfLds_half_ip_CI_unitstride_sbrr_dirReg, .Lfunc_end0-fft_rtc_back_len2430_factors_10_3_3_3_3_3_wgs_81_tpt_81_halfLds_half_ip_CI_unitstride_sbrr_dirReg
                                        ; -- End function
	.section	.AMDGPU.csdata,"",@progbits
; Kernel info:
; codeLenInByte = 20068
; NumSgprs: 26
; NumVgprs: 117
; ScratchSize: 0
; MemoryBound: 0
; FloatMode: 240
; IeeeMode: 1
; LDSByteSize: 0 bytes/workgroup (compile time only)
; SGPRBlocks: 3
; VGPRBlocks: 29
; NumSGPRsForWavesPerEU: 26
; NumVGPRsForWavesPerEU: 117
; Occupancy: 2
; WaveLimiterHint : 1
; COMPUTE_PGM_RSRC2:SCRATCH_EN: 0
; COMPUTE_PGM_RSRC2:USER_SGPR: 6
; COMPUTE_PGM_RSRC2:TRAP_HANDLER: 0
; COMPUTE_PGM_RSRC2:TGID_X_EN: 1
; COMPUTE_PGM_RSRC2:TGID_Y_EN: 0
; COMPUTE_PGM_RSRC2:TGID_Z_EN: 0
; COMPUTE_PGM_RSRC2:TIDIG_COMP_CNT: 0
	.type	__hip_cuid_f9b9f962fa33dbad,@object ; @__hip_cuid_f9b9f962fa33dbad
	.section	.bss,"aw",@nobits
	.globl	__hip_cuid_f9b9f962fa33dbad
__hip_cuid_f9b9f962fa33dbad:
	.byte	0                               ; 0x0
	.size	__hip_cuid_f9b9f962fa33dbad, 1

	.ident	"AMD clang version 19.0.0git (https://github.com/RadeonOpenCompute/llvm-project roc-6.4.0 25133 c7fe45cf4b819c5991fe208aaa96edf142730f1d)"
	.section	".note.GNU-stack","",@progbits
	.addrsig
	.addrsig_sym __hip_cuid_f9b9f962fa33dbad
	.amdgpu_metadata
---
amdhsa.kernels:
  - .args:
      - .actual_access:  read_only
        .address_space:  global
        .offset:         0
        .size:           8
        .value_kind:     global_buffer
      - .offset:         8
        .size:           8
        .value_kind:     by_value
      - .actual_access:  read_only
        .address_space:  global
        .offset:         16
        .size:           8
        .value_kind:     global_buffer
      - .actual_access:  read_only
        .address_space:  global
        .offset:         24
        .size:           8
        .value_kind:     global_buffer
      - .offset:         32
        .size:           8
        .value_kind:     by_value
      - .actual_access:  read_only
        .address_space:  global
        .offset:         40
        .size:           8
        .value_kind:     global_buffer
      - .actual_access:  read_only
        .address_space:  global
        .offset:         48
        .size:           8
        .value_kind:     global_buffer
      - .offset:         56
        .size:           4
        .value_kind:     by_value
      - .actual_access:  read_only
        .address_space:  global
        .offset:         64
        .size:           8
        .value_kind:     global_buffer
      - .actual_access:  read_only
        .address_space:  global
        .offset:         72
        .size:           8
        .value_kind:     global_buffer
      - .address_space:  global
        .offset:         80
        .size:           8
        .value_kind:     global_buffer
    .group_segment_fixed_size: 0
    .kernarg_segment_align: 8
    .kernarg_segment_size: 88
    .language:       OpenCL C
    .language_version:
      - 2
      - 0
    .max_flat_workgroup_size: 81
    .name:           fft_rtc_back_len2430_factors_10_3_3_3_3_3_wgs_81_tpt_81_halfLds_half_ip_CI_unitstride_sbrr_dirReg
    .private_segment_fixed_size: 0
    .sgpr_count:     26
    .sgpr_spill_count: 0
    .symbol:         fft_rtc_back_len2430_factors_10_3_3_3_3_3_wgs_81_tpt_81_halfLds_half_ip_CI_unitstride_sbrr_dirReg.kd
    .uniform_work_group_size: 1
    .uses_dynamic_stack: false
    .vgpr_count:     117
    .vgpr_spill_count: 0
    .wavefront_size: 64
amdhsa.target:   amdgcn-amd-amdhsa--gfx906
amdhsa.version:
  - 1
  - 2
...

	.end_amdgpu_metadata
